;; amdgpu-corpus repo=ROCm/rocFFT kind=compiled arch=gfx1201 opt=O3
	.text
	.amdgcn_target "amdgcn-amd-amdhsa--gfx1201"
	.amdhsa_code_object_version 6
	.protected	bluestein_single_fwd_len1225_dim1_sp_op_CI_CI ; -- Begin function bluestein_single_fwd_len1225_dim1_sp_op_CI_CI
	.globl	bluestein_single_fwd_len1225_dim1_sp_op_CI_CI
	.p2align	8
	.type	bluestein_single_fwd_len1225_dim1_sp_op_CI_CI,@function
bluestein_single_fwd_len1225_dim1_sp_op_CI_CI: ; @bluestein_single_fwd_len1225_dim1_sp_op_CI_CI
; %bb.0:
	s_load_b128 s[12:15], s[0:1], 0x28
	v_mul_u32_u24_e32 v1, 0x177, v0
	s_mov_b32 s2, exec_lo
	v_mov_b32_e32 v63, 0
	s_delay_alu instid0(VALU_DEP_2) | instskip(NEXT) | instid1(VALU_DEP_1)
	v_lshrrev_b32_e32 v1, 16, v1
	v_add_nc_u32_e32 v62, ttmp9, v1
	s_wait_kmcnt 0x0
	s_delay_alu instid0(VALU_DEP_1)
	v_cmpx_gt_u64_e64 s[12:13], v[62:63]
	s_cbranch_execz .LBB0_23
; %bb.1:
	s_clause 0x1
	s_load_b128 s[4:7], s[0:1], 0x18
	s_load_b64 s[12:13], s[0:1], 0x0
	v_mul_lo_u16 v1, 0xaf, v1
	s_delay_alu instid0(VALU_DEP_1) | instskip(NEXT) | instid1(VALU_DEP_1)
	v_sub_nc_u16 v18, v0, v1
	v_and_b32_e32 v76, 0xffff, v18
	s_wait_kmcnt 0x0
	s_load_b128 s[8:11], s[4:5], 0x0
	s_wait_kmcnt 0x0
	v_mad_co_u64_u32 v[0:1], null, s10, v62, 0
	v_mad_co_u64_u32 v[2:3], null, s8, v76, 0
	s_mul_u64 s[2:3], s[8:9], 0xf5
	s_delay_alu instid0(VALU_DEP_1) | instskip(NEXT) | instid1(VALU_DEP_1)
	v_mad_co_u64_u32 v[4:5], null, s11, v62, v[1:2]
	v_mov_b32_e32 v1, v4
	s_delay_alu instid0(VALU_DEP_3)
	v_mad_co_u64_u32 v[5:6], null, s9, v76, v[3:4]
	v_lshlrev_b32_e32 v75, 3, v76
	s_clause 0x2
	global_load_b64 v[65:66], v75, s[12:13]
	global_load_b64 v[67:68], v75, s[12:13] offset:1960
	global_load_b64 v[63:64], v75, s[12:13] offset:3920
	v_mov_b32_e32 v3, v5
	v_lshlrev_b64_e32 v[0:1], 3, v[0:1]
	s_delay_alu instid0(VALU_DEP_2) | instskip(NEXT) | instid1(VALU_DEP_2)
	v_lshlrev_b64_e32 v[2:3], 3, v[2:3]
	v_add_co_u32 v0, vcc_lo, s14, v0
	s_delay_alu instid0(VALU_DEP_3) | instskip(SKIP_1) | instid1(VALU_DEP_2)
	v_add_co_ci_u32_e32 v1, vcc_lo, s15, v1, vcc_lo
	s_lshl_b64 s[14:15], s[2:3], 3
	v_add_co_u32 v0, vcc_lo, v0, v2
	s_wait_alu 0xfffd
	s_delay_alu instid0(VALU_DEP_2) | instskip(SKIP_1) | instid1(VALU_DEP_2)
	v_add_co_ci_u32_e32 v1, vcc_lo, v1, v3, vcc_lo
	s_wait_alu 0xfffe
	v_add_co_u32 v2, vcc_lo, v0, s14
	s_wait_alu 0xfffd
	s_delay_alu instid0(VALU_DEP_2)
	v_add_co_ci_u32_e32 v3, vcc_lo, s15, v1, vcc_lo
	s_clause 0x1
	global_load_b64 v[6:7], v[0:1], off
	global_load_b64 v[8:9], v[2:3], off
	v_add_co_u32 v4, vcc_lo, v2, s14
	s_wait_alu 0xfffd
	v_add_co_ci_u32_e32 v5, vcc_lo, s15, v3, vcc_lo
	s_delay_alu instid0(VALU_DEP_2) | instskip(SKIP_1) | instid1(VALU_DEP_2)
	v_add_co_u32 v2, vcc_lo, v4, s14
	s_wait_alu 0xfffd
	v_add_co_ci_u32_e32 v3, vcc_lo, s15, v5, vcc_lo
	global_load_b64 v[4:5], v[4:5], off
	v_add_co_u32 v0, vcc_lo, v2, s14
	s_wait_alu 0xfffd
	v_add_co_ci_u32_e32 v1, vcc_lo, s15, v3, vcc_lo
	v_cmp_gt_u16_e32 vcc_lo, 0x46, v18
	s_wait_loadcnt 0x2
	v_mul_f32_e32 v14, v7, v66
	v_mul_f32_e32 v15, v6, v66
	s_delay_alu instid0(VALU_DEP_2)
	v_fmac_f32_e32 v14, v6, v65
	global_load_b64 v[69:70], v75, s[12:13] offset:5880
	global_load_b64 v[10:11], v[2:3], off
	global_load_b64 v[71:72], v75, s[12:13] offset:7840
	global_load_b64 v[12:13], v[0:1], off
	s_load_b64 s[10:11], s[0:1], 0x38
	s_load_b128 s[4:7], s[6:7], 0x0
	s_wait_loadcnt 0x5
	v_dual_mul_f32 v17, v8, v68 :: v_dual_add_nc_u32 v2, 0xf00, v75
	v_fma_f32 v15, v7, v65, -v15
	s_wait_loadcnt 0x4
	v_mul_f32_e32 v3, v5, v64
	v_mul_f32_e32 v16, v9, v68
	v_add_co_u32 v60, s2, s12, v75
	s_delay_alu instid0(VALU_DEP_1) | instskip(NEXT) | instid1(VALU_DEP_4)
	v_add_co_ci_u32_e64 v61, null, s13, 0, s2
	v_fmac_f32_e32 v3, v4, v63
	s_delay_alu instid0(VALU_DEP_4)
	v_fmac_f32_e32 v16, v8, v67
	s_wait_loadcnt 0x2
	v_mul_f32_e32 v6, v11, v70
	v_fma_f32 v17, v9, v67, -v17
	v_mul_f32_e32 v7, v4, v64
	s_wait_loadcnt 0x0
	v_dual_mul_f32 v9, v10, v70 :: v_dual_mul_f32 v8, v13, v72
	v_dual_mul_f32 v19, v12, v72 :: v_dual_fmac_f32 v6, v10, v69
	s_delay_alu instid0(VALU_DEP_3) | instskip(NEXT) | instid1(VALU_DEP_3)
	v_fma_f32 v4, v5, v63, -v7
	v_fma_f32 v7, v11, v69, -v9
	s_delay_alu instid0(VALU_DEP_4) | instskip(NEXT) | instid1(VALU_DEP_4)
	v_fmac_f32_e32 v8, v12, v71
	v_fma_f32 v9, v13, v71, -v19
	ds_store_2addr_b64 v75, v[14:15], v[16:17] offset1:245
	ds_store_2addr_b64 v2, v[3:4], v[6:7] offset0:10 offset1:255
	ds_store_b64 v75, v[8:9] offset:7840
	s_and_saveexec_b32 s3, vcc_lo
	s_cbranch_execz .LBB0_3
; %bb.2:
	v_mad_co_u64_u32 v[0:1], null, 0xffffe6d8, s8, v[0:1]
	s_mul_i32 s2, s9, 0xffffe6d8
	s_clause 0x2
	global_load_b64 v[3:4], v[60:61], off offset:1400
	global_load_b64 v[5:6], v[60:61], off offset:3360
	;; [unrolled: 1-line block ×3, first 2 shown]
	s_wait_alu 0xfffe
	s_sub_co_i32 s2, s2, s8
	v_add_nc_u32_e32 v24, 0x1480, v75
	s_wait_alu 0xfffe
	v_add_nc_u32_e32 v1, s2, v1
	v_add_co_u32 v9, s2, v0, s14
	s_wait_alu 0xf1ff
	s_delay_alu instid0(VALU_DEP_2) | instskip(NEXT) | instid1(VALU_DEP_2)
	v_add_co_ci_u32_e64 v10, s2, s15, v1, s2
	v_add_co_u32 v11, s2, v9, s14
	global_load_b64 v[0:1], v[0:1], off
	s_wait_alu 0xf1ff
	v_add_co_ci_u32_e64 v12, s2, s15, v10, s2
	v_add_co_u32 v13, s2, v11, s14
	global_load_b64 v[9:10], v[9:10], off
	s_wait_alu 0xf1ff
	;; [unrolled: 4-line block ×3, first 2 shown]
	v_add_co_ci_u32_e64 v16, s2, s15, v14, s2
	global_load_b64 v[17:18], v[60:61], off offset:7280
	global_load_b64 v[13:14], v[13:14], off
	global_load_b64 v[19:20], v[60:61], off offset:9240
	global_load_b64 v[15:16], v[15:16], off
	v_add_nc_u32_e32 v23, 0x540, v75
	s_wait_loadcnt 0x6
	v_mul_f32_e32 v21, v1, v4
	v_mul_f32_e32 v22, v0, v4
	s_wait_loadcnt 0x5
	v_mul_f32_e32 v4, v10, v6
	s_delay_alu instid0(VALU_DEP_3) | instskip(NEXT) | instid1(VALU_DEP_3)
	v_dual_mul_f32 v6, v9, v6 :: v_dual_fmac_f32 v21, v0, v3
	v_fma_f32 v22, v1, v3, -v22
	s_wait_loadcnt 0x2
	v_dual_mul_f32 v0, v12, v8 :: v_dual_mul_f32 v3, v13, v18
	v_dual_fmac_f32 v4, v9, v5 :: v_dual_mul_f32 v1, v11, v8
	v_fma_f32 v5, v10, v5, -v6
	s_wait_loadcnt 0x0
	v_dual_mul_f32 v6, v14, v18 :: v_dual_mul_f32 v9, v15, v20
	v_mul_f32_e32 v8, v16, v20
	v_fmac_f32_e32 v0, v11, v7
	v_fma_f32 v1, v12, v7, -v1
	s_delay_alu instid0(VALU_DEP_4)
	v_fmac_f32_e32 v6, v13, v17
	v_fma_f32 v7, v14, v17, -v3
	v_fmac_f32_e32 v8, v15, v19
	v_fma_f32 v9, v16, v19, -v9
	ds_store_2addr_b64 v23, v[21:22], v[4:5] offset0:7 offset1:252
	ds_store_2addr_b64 v24, v[0:1], v[6:7] offset0:9 offset1:254
	ds_store_b64 v75, v[8:9] offset:9240
.LBB0_3:
	s_wait_alu 0xfffe
	s_or_b32 exec_lo, exec_lo, s3
	global_wb scope:SCOPE_SE
	s_wait_dscnt 0x0
	s_wait_kmcnt 0x0
	s_barrier_signal -1
	s_barrier_wait -1
	global_inv scope:SCOPE_SE
	ds_load_2addr_b64 v[4:7], v75 offset1:245
	ds_load_2addr_b64 v[8:11], v2 offset0:10 offset1:255
	ds_load_b64 v[14:15], v75 offset:7840
                                        ; implicit-def: $vgpr16
                                        ; implicit-def: $vgpr0
                                        ; implicit-def: $vgpr12
	s_and_saveexec_b32 s2, vcc_lo
	s_cbranch_execz .LBB0_5
; %bb.4:
	v_add_nc_u32_e32 v0, 0x540, v75
	v_add_nc_u32_e32 v1, 0x1480, v75
	ds_load_2addr_b64 v[16:19], v0 offset0:7 offset1:252
	ds_load_2addr_b64 v[0:3], v1 offset0:9 offset1:254
	ds_load_b64 v[12:13], v75 offset:9240
.LBB0_5:
	s_wait_alu 0xfffe
	s_or_b32 exec_lo, exec_lo, s2
	s_wait_dscnt 0x0
	v_dual_add_f32 v21, v4, v6 :: v_dual_sub_f32 v22, v7, v15
	v_dual_add_f32 v20, v8, v10 :: v_dual_sub_f32 v23, v9, v11
	s_delay_alu instid0(VALU_DEP_2) | instskip(SKIP_1) | instid1(VALU_DEP_2)
	v_dual_sub_f32 v24, v14, v10 :: v_dual_add_f32 v21, v21, v8
	s_load_b64 s[0:1], s[0:1], 0x8
	v_fma_f32 v26, -0.5, v20, v4
	v_sub_f32_e32 v20, v6, v8
	global_wb scope:SCOPE_SE
	v_add_f32_e32 v21, v21, v10
	v_add_f32_e32 v25, v6, v14
	v_fmamk_f32 v28, v22, 0x3f737871, v26
	v_add_f32_e32 v20, v20, v24
	v_fmac_f32_e32 v26, 0xbf737871, v22
	s_wait_kmcnt 0x0
	s_barrier_signal -1
	v_fma_f32 v30, -0.5, v25, v4
	v_add_f32_e32 v25, v5, v7
	v_add_co_u32 v4, null, 0xaf, v76
	s_delay_alu instid0(VALU_DEP_3) | instskip(SKIP_1) | instid1(VALU_DEP_2)
	v_dual_add_f32 v27, v9, v11 :: v_dual_fmamk_f32 v32, v23, 0xbf737871, v30
	s_barrier_wait -1
	v_mul_u32_u24_e32 v78, 5, v4
	global_inv scope:SCOPE_SE
	v_fma_f32 v27, -0.5, v27, v5
	v_add_f32_e32 v34, v21, v14
	v_sub_f32_e32 v21, v8, v6
	v_sub_f32_e32 v8, v8, v10
	;; [unrolled: 1-line block ×3, first 2 shown]
	v_fmac_f32_e32 v30, 0x3f737871, v23
	v_fmac_f32_e32 v32, 0x3f167918, v22
	s_delay_alu instid0(VALU_DEP_3)
	v_fmamk_f32 v29, v6, 0xbf737871, v27
	v_sub_f32_e32 v24, v10, v14
	v_dual_sub_f32 v10, v7, v9 :: v_dual_fmac_f32 v27, 0x3f737871, v6
	v_fmac_f32_e32 v30, 0xbf167918, v22
	v_sub_f32_e32 v22, v15, v11
	v_dual_fmac_f32 v26, 0xbf167918, v23 :: v_dual_fmac_f32 v29, 0xbf167918, v8
	v_dual_fmac_f32 v28, 0x3f167918, v23 :: v_dual_add_f32 v21, v21, v24
	s_delay_alu instid0(VALU_DEP_2) | instskip(SKIP_1) | instid1(VALU_DEP_3)
	v_dual_add_f32 v23, v25, v9 :: v_dual_fmac_f32 v26, 0x3e9e377a, v20
	v_fmac_f32_e32 v27, 0x3f167918, v8
	v_fmac_f32_e32 v28, 0x3e9e377a, v20
	v_add_f32_e32 v20, v7, v15
	v_sub_f32_e32 v7, v9, v7
	v_sub_f32_e32 v9, v11, v15
	s_delay_alu instid0(VALU_DEP_3) | instskip(SKIP_1) | instid1(VALU_DEP_3)
	v_fma_f32 v31, -0.5, v20, v5
	v_dual_add_f32 v5, v10, v22 :: v_dual_add_f32 v14, v23, v11
	v_add_f32_e32 v7, v7, v9
	v_add_f32_e32 v9, v16, v18
	v_sub_f32_e32 v11, v12, v2
	s_delay_alu instid0(VALU_DEP_4)
	v_fmac_f32_e32 v29, 0x3e9e377a, v5
	v_dual_add_f32 v35, v14, v15 :: v_dual_fmac_f32 v32, 0x3e9e377a, v21
	v_dual_fmac_f32 v27, 0x3e9e377a, v5 :: v_dual_add_f32 v10, v0, v2
	v_fmamk_f32 v33, v8, 0x3f737871, v31
	v_fmac_f32_e32 v31, 0xbf737871, v8
	v_add_f32_e32 v14, v18, v12
	v_add_f32_e32 v5, v9, v0
	v_fma_f32 v36, -0.5, v10, v16
	v_sub_f32_e32 v10, v19, v13
	v_dual_sub_f32 v8, v1, v3 :: v_dual_sub_f32 v9, v18, v0
	v_fmac_f32_e32 v31, 0x3f167918, v6
	v_fmac_f32_e32 v16, -0.5, v14
	s_delay_alu instid0(VALU_DEP_4)
	v_fmamk_f32 v22, v10, 0x3f737871, v36
	v_fmac_f32_e32 v33, 0xbf167918, v6
	v_add_f32_e32 v5, v5, v2
	v_add_f32_e32 v6, v9, v11
	v_fmac_f32_e32 v31, 0x3e9e377a, v7
	v_fmac_f32_e32 v22, 0x3f167918, v8
	;; [unrolled: 1-line block ×3, first 2 shown]
	v_dual_fmamk_f32 v24, v8, 0xbf737871, v16 :: v_dual_add_f32 v11, v1, v3
	v_dual_fmac_f32 v30, 0x3e9e377a, v21 :: v_dual_fmac_f32 v33, 0x3e9e377a, v7
	v_sub_f32_e32 v7, v2, v12
	s_delay_alu instid0(VALU_DEP_4)
	v_dual_fmac_f32 v36, 0xbf167918, v8 :: v_dual_add_f32 v9, v17, v19
	v_fmac_f32_e32 v16, 0x3f737871, v8
	v_fma_f32 v37, -0.5, v11, v17
	v_sub_f32_e32 v8, v18, v12
	v_dual_add_f32 v20, v5, v12 :: v_dual_sub_f32 v5, v0, v18
	v_fmac_f32_e32 v22, 0x3e9e377a, v6
	s_delay_alu instid0(VALU_DEP_2) | instskip(SKIP_4) | instid1(VALU_DEP_4)
	v_dual_fmac_f32 v24, 0x3f167918, v10 :: v_dual_add_f32 v5, v5, v7
	v_dual_add_f32 v7, v9, v1 :: v_dual_fmac_f32 v36, 0x3e9e377a, v6
	v_sub_f32_e32 v9, v13, v3
	v_fmamk_f32 v23, v8, 0xbf737871, v37
	v_dual_sub_f32 v0, v0, v2 :: v_dual_fmac_f32 v37, 0x3f737871, v8
	v_add_f32_e32 v6, v7, v3
	v_add_f32_e32 v7, v19, v13
	v_fmac_f32_e32 v24, 0x3e9e377a, v5
	s_delay_alu instid0(VALU_DEP_4) | instskip(NEXT) | instid1(VALU_DEP_4)
	v_dual_fmac_f32 v23, 0xbf167918, v0 :: v_dual_fmac_f32 v16, 0xbf167918, v10
	v_add_f32_e32 v21, v6, v13
	s_delay_alu instid0(VALU_DEP_4) | instskip(SKIP_2) | instid1(VALU_DEP_3)
	v_dual_fmac_f32 v17, -0.5, v7 :: v_dual_sub_f32 v2, v19, v1
	v_sub_f32_e32 v1, v1, v19
	v_fmac_f32_e32 v37, 0x3f167918, v0
	v_dual_fmamk_f32 v25, v0, 0x3f737871, v17 :: v_dual_add_f32 v2, v2, v9
	v_fmac_f32_e32 v17, 0xbf737871, v0
	v_mul_lo_u16 v0, v76, 5
	v_sub_f32_e32 v3, v3, v13
	s_delay_alu instid0(VALU_DEP_4)
	v_fmac_f32_e32 v25, 0xbf167918, v8
	v_fmac_f32_e32 v23, 0x3e9e377a, v2
	;; [unrolled: 1-line block ×3, first 2 shown]
	v_and_b32_e32 v0, 0xffff, v0
	v_dual_fmac_f32 v16, 0x3e9e377a, v5 :: v_dual_add_f32 v1, v1, v3
	v_fmac_f32_e32 v37, 0x3e9e377a, v2
	s_delay_alu instid0(VALU_DEP_3)
	v_lshlrev_b32_e32 v77, 3, v0
	ds_store_2addr_b64 v77, v[34:35], v[28:29] offset1:1
	ds_store_2addr_b64 v77, v[32:33], v[30:31] offset0:2 offset1:3
	ds_store_b64 v77, v[26:27] offset:32
	v_fmac_f32_e32 v25, 0x3e9e377a, v1
	v_fmac_f32_e32 v17, 0x3e9e377a, v1
	s_and_saveexec_b32 s2, vcc_lo
	s_cbranch_execz .LBB0_7
; %bb.6:
	s_delay_alu instid0(VALU_DEP_1)
	v_dual_mov_b32 v1, v17 :: v_dual_lshlrev_b32 v2, 3, v78
	v_mov_b32_e32 v0, v16
	ds_store_2addr_b64 v2, v[20:21], v[22:23] offset1:1
	ds_store_2addr_b64 v2, v[24:25], v[0:1] offset0:2 offset1:3
	ds_store_b64 v2, v[36:37] offset:32
.LBB0_7:
	s_wait_alu 0xfffe
	s_or_b32 exec_lo, exec_lo, s2
	v_add_nc_u32_e32 v0, 0xf00, v75
	global_wb scope:SCOPE_SE
	s_wait_dscnt 0x0
	s_barrier_signal -1
	s_barrier_wait -1
	global_inv scope:SCOPE_SE
	ds_load_2addr_b64 v[28:31], v75 offset1:245
	ds_load_2addr_b64 v[32:35], v0 offset0:10 offset1:255
	ds_load_b64 v[18:19], v75 offset:7840
	s_and_saveexec_b32 s2, vcc_lo
	s_cbranch_execz .LBB0_9
; %bb.8:
	v_add_nc_u32_e32 v0, 0x1480, v75
	ds_load_2addr_b64 v[24:27], v0 offset0:9 offset1:254
	v_add_nc_u32_e32 v0, 0x540, v75
	ds_load_b64 v[36:37], v75 offset:9240
	ds_load_2addr_b64 v[20:23], v0 offset0:7 offset1:252
	s_wait_dscnt 0x2
	v_dual_mov_b32 v17, v27 :: v_dual_mov_b32 v16, v26
.LBB0_9:
	s_wait_alu 0xfffe
	s_or_b32 exec_lo, exec_lo, s2
	v_and_b32_e32 v26, 0xff, v76
	s_delay_alu instid0(VALU_DEP_1) | instskip(NEXT) | instid1(VALU_DEP_1)
	v_mul_lo_u16 v0, 0xcd, v26
	v_lshrrev_b16 v27, 10, v0
	s_delay_alu instid0(VALU_DEP_1) | instskip(NEXT) | instid1(VALU_DEP_1)
	v_mul_lo_u16 v1, v27, 5
	v_sub_nc_u16 v1, v76, v1
	s_delay_alu instid0(VALU_DEP_1) | instskip(NEXT) | instid1(VALU_DEP_1)
	v_and_b32_e32 v38, 0xff, v1
	v_lshlrev_b32_e32 v1, 5, v38
	s_clause 0x1
	global_load_b128 v[12:15], v1, s[0:1]
	global_load_b128 v[8:11], v1, s[0:1] offset:16
	v_and_b32_e32 v0, 0xffff, v4
	v_and_b32_e32 v27, 0xffff, v27
	s_wait_loadcnt_dscnt 0x1
	v_dual_mul_f32 v41, v32, v15 :: v_dual_mul_f32 v42, v35, v9
	s_delay_alu instid0(VALU_DEP_3) | instskip(NEXT) | instid1(VALU_DEP_3)
	v_mul_u32_u24_e32 v0, 0xcccd, v0
	v_mul_u32_u24_e32 v27, 25, v27
	s_wait_dscnt 0x0
	v_mul_f32_e32 v49, v18, v11
	v_dual_mul_f32 v43, v34, v9 :: v_dual_mul_f32 v40, v33, v15
	v_lshrrev_b32_e32 v39, 18, v0
	v_add_lshl_u32 v79, v27, v38, 3
	v_mul_f32_e32 v27, v31, v13
	s_delay_alu instid0(VALU_DEP_4)
	v_fmac_f32_e32 v43, v35, v8
	v_fmac_f32_e32 v41, v33, v14
	v_mul_lo_u16 v0, v39, 5
	v_mul_f32_e32 v38, v30, v13
	v_fma_f32 v45, v30, v12, -v27
	v_fma_f32 v32, v32, v14, -v40
	;; [unrolled: 1-line block ×3, first 2 shown]
	v_sub_nc_u16 v50, v4, v0
	v_add_f32_e32 v47, v41, v43
	v_sub_f32_e32 v52, v41, v43
	s_delay_alu instid0(VALU_DEP_4) | instskip(NEXT) | instid1(VALU_DEP_4)
	v_sub_f32_e32 v54, v32, v33
	v_lshlrev_b16 v0, 2, v50
	s_delay_alu instid0(VALU_DEP_1) | instskip(NEXT) | instid1(VALU_DEP_1)
	v_and_b32_e32 v0, 0xffff, v0
	v_lshlrev_b32_e32 v0, 3, v0
	s_clause 0x1
	global_load_b128 v[4:7], v0, s[0:1]
	global_load_b128 v[0:3], v0, s[0:1] offset:16
	v_mul_f32_e32 v44, v19, v11
	v_fmac_f32_e32 v38, v31, v12
	v_fmac_f32_e32 v49, v19, v10
	global_wb scope:SCOPE_SE
	s_wait_loadcnt 0x0
	s_barrier_signal -1
	s_barrier_wait -1
	global_inv scope:SCOPE_SE
	v_dual_mul_f32 v34, v25, v7 :: v_dual_mul_f32 v31, v22, v5
	v_fma_f32 v40, v18, v10, -v44
	v_dual_mul_f32 v27, v24, v7 :: v_dual_mul_f32 v30, v23, v5
	v_dual_mul_f32 v35, v17, v1 :: v_dual_mul_f32 v18, v36, v3
	;; [unrolled: 1-line block ×3, first 2 shown]
	v_fmac_f32_e32 v31, v23, v4
	v_fma_f32 v23, v24, v6, -v34
	s_delay_alu instid0(VALU_DEP_4)
	v_fmac_f32_e32 v18, v37, v2
	v_fmac_f32_e32 v27, v25, v6
	v_fma_f32 v30, v22, v4, -v30
	v_fma_f32 v22, v16, v0, -v35
	v_dual_fmac_f32 v19, v17, v0 :: v_dual_add_f32 v24, v32, v33
	v_fma_f32 v16, v36, v2, -v42
	v_add_f32_e32 v17, v28, v45
	v_dual_sub_f32 v51, v38, v49 :: v_dual_add_f32 v36, v45, v40
	v_dual_sub_f32 v25, v45, v32 :: v_dual_sub_f32 v34, v40, v33
	v_sub_f32_e32 v42, v32, v45
	v_sub_f32_e32 v44, v33, v40
	v_dual_add_f32 v46, v29, v38 :: v_dual_add_f32 v55, v38, v49
	v_sub_f32_e32 v53, v45, v40
	v_dual_sub_f32 v45, v38, v41 :: v_dual_sub_f32 v48, v49, v43
	v_dual_sub_f32 v57, v43, v49 :: v_dual_sub_f32 v56, v41, v38
	v_add_f32_e32 v59, v42, v44
	v_add_f32_e32 v32, v17, v32
	v_fma_f32 v35, -0.5, v24, v28
	v_dual_add_f32 v58, v25, v34 :: v_dual_sub_f32 v25, v27, v19
	v_fma_f32 v37, -0.5, v36, v28
	v_dual_add_f32 v28, v46, v41 :: v_dual_add_f32 v73, v45, v48
	v_fma_f32 v38, -0.5, v55, v29
	v_dual_add_f32 v55, v56, v57 :: v_dual_add_f32 v34, v23, v22
	v_dual_sub_f32 v41, v30, v23 :: v_dual_sub_f32 v42, v16, v22
	v_dual_add_f32 v48, v30, v16 :: v_dual_sub_f32 v17, v23, v22
	v_dual_add_f32 v74, v27, v19 :: v_dual_add_f32 v85, v32, v33
	v_add_f32_e32 v82, v31, v18
	v_fma_f32 v36, -0.5, v47, v29
	v_dual_sub_f32 v24, v31, v18 :: v_dual_sub_f32 v57, v22, v16
	v_dual_sub_f32 v56, v23, v30 :: v_dual_sub_f32 v81, v18, v19
	v_dual_sub_f32 v29, v30, v16 :: v_dual_sub_f32 v80, v31, v27
	v_dual_sub_f32 v83, v27, v31 :: v_dual_fmamk_f32 v46, v52, 0xbf737871, v37
	v_dual_fmamk_f32 v44, v51, 0x3f737871, v35 :: v_dual_fmamk_f32 v47, v54, 0x3f737871, v38
	v_fmac_f32_e32 v35, 0xbf737871, v51
	v_dual_fmac_f32 v37, 0x3f737871, v52 :: v_dual_add_f32 v86, v28, v43
	v_fma_f32 v28, -0.5, v34, v20
	v_add_f32_e32 v34, v41, v42
	v_fma_f32 v42, -0.5, v48, v20
	s_delay_alu instid0(VALU_DEP_4)
	v_fmac_f32_e32 v37, 0xbf167918, v51
	v_fma_f32 v33, -0.5, v74, v21
	v_fma_f32 v43, -0.5, v82, v21
	v_dual_sub_f32 v84, v19, v18 :: v_dual_fmamk_f32 v45, v53, 0xbf737871, v36
	v_fmac_f32_e32 v36, 0x3f737871, v53
	v_dual_fmac_f32 v38, 0xbf737871, v54 :: v_dual_add_f32 v87, v56, v57
	v_dual_add_f32 v48, v85, v40 :: v_dual_fmac_f32 v47, 0xbf167918, v53
	v_fmamk_f32 v56, v24, 0xbf737871, v28
	v_fmamk_f32 v40, v25, 0xbf737871, v42
	v_dual_fmac_f32 v42, 0x3f737871, v25 :: v_dual_fmamk_f32 v41, v17, 0x3f737871, v43
	v_fmamk_f32 v57, v29, 0x3f737871, v33
	v_fmac_f32_e32 v43, 0xbf737871, v17
	v_dual_add_f32 v32, v80, v81 :: v_dual_fmac_f32 v45, 0xbf167918, v54
	s_delay_alu instid0(VALU_DEP_3)
	v_dual_fmac_f32 v44, 0x3f167918, v52 :: v_dual_fmac_f32 v57, 0x3f167918, v17
	v_fmac_f32_e32 v35, 0xbf167918, v52
	v_dual_add_f32 v74, v83, v84 :: v_dual_add_f32 v49, v86, v49
	v_dual_fmac_f32 v46, 0x3f167918, v51 :: v_dual_fmac_f32 v43, 0x3f167918, v29
	v_fmac_f32_e32 v56, 0xbf167918, v25
	v_fmac_f32_e32 v40, 0x3f167918, v24
	v_dual_fmac_f32 v42, 0xbf167918, v24 :: v_dual_fmac_f32 v41, 0xbf167918, v29
	v_fmac_f32_e32 v36, 0x3f167918, v54
	v_fmac_f32_e32 v38, 0x3f167918, v53
	v_dual_fmac_f32 v44, 0x3e9e377a, v58 :: v_dual_fmac_f32 v37, 0x3e9e377a, v59
	v_dual_fmac_f32 v45, 0x3e9e377a, v73 :: v_dual_fmac_f32 v56, 0x3e9e377a, v34
	;; [unrolled: 1-line block ×4, first 2 shown]
	v_fmac_f32_e32 v43, 0x3e9e377a, v74
	v_mad_u16 v80, v39, 25, v50
	v_dual_fmac_f32 v35, 0x3e9e377a, v58 :: v_dual_fmac_f32 v46, 0x3e9e377a, v59
	v_dual_fmac_f32 v36, 0x3e9e377a, v73 :: v_dual_fmac_f32 v47, 0x3e9e377a, v55
	v_fmac_f32_e32 v38, 0x3e9e377a, v55
	ds_store_2addr_b64 v79, v[48:49], v[44:45] offset1:5
	ds_store_2addr_b64 v79, v[46:47], v[37:38] offset0:10 offset1:15
	ds_store_b64 v79, v[35:36] offset:160
	s_and_saveexec_b32 s2, vcc_lo
	s_cbranch_execz .LBB0_11
; %bb.10:
	v_dual_mul_f32 v24, 0x3f737871, v24 :: v_dual_mul_f32 v29, 0x3f737871, v29
	v_dual_mul_f32 v25, 0x3f167918, v25 :: v_dual_add_f32 v20, v20, v30
	s_delay_alu instid0(VALU_DEP_2) | instskip(SKIP_1) | instid1(VALU_DEP_3)
	v_dual_add_f32 v21, v21, v31 :: v_dual_add_f32 v24, v28, v24
	v_mul_f32_e32 v31, 0x3e9e377a, v34
	v_dual_mul_f32 v17, 0x3f167918, v17 :: v_dual_add_f32 v20, v20, v23
	v_sub_f32_e32 v29, v33, v29
	s_delay_alu instid0(VALU_DEP_4) | instskip(SKIP_1) | instid1(VALU_DEP_4)
	v_add_f32_e32 v21, v21, v27
	v_add_f32_e32 v24, v25, v24
	;; [unrolled: 1-line block ×3, first 2 shown]
	v_and_b32_e32 v22, 0xffff, v80
	v_mul_f32_e32 v23, 0x3e9e377a, v32
	v_sub_f32_e32 v17, v29, v17
	s_delay_alu instid0(VALU_DEP_4) | instskip(NEXT) | instid1(VALU_DEP_2)
	v_dual_add_f32 v21, v21, v19 :: v_dual_add_f32 v16, v20, v16
	v_dual_add_f32 v19, v23, v17 :: v_dual_lshlrev_b32 v20, 3, v22
	s_delay_alu instid0(VALU_DEP_2)
	v_dual_add_f32 v17, v21, v18 :: v_dual_add_f32 v18, v31, v24
	ds_store_2addr_b64 v20, v[16:17], v[18:19] offset1:5
	ds_store_2addr_b64 v20, v[40:41], v[42:43] offset0:10 offset1:15
	ds_store_b64 v20, v[56:57] offset:160
.LBB0_11:
	s_wait_alu 0xfffe
	s_or_b32 exec_lo, exec_lo, s2
	v_mul_lo_u16 v16, v26, 41
	global_wb scope:SCOPE_SE
	s_wait_dscnt 0x0
	s_barrier_signal -1
	s_barrier_wait -1
	global_inv scope:SCOPE_SE
	v_lshrrev_b16 v44, 10, v16
	s_delay_alu instid0(VALU_DEP_1) | instskip(NEXT) | instid1(VALU_DEP_1)
	v_mul_lo_u16 v16, v44, 25
	v_sub_nc_u16 v16, v76, v16
	s_delay_alu instid0(VALU_DEP_1) | instskip(NEXT) | instid1(VALU_DEP_1)
	v_and_b32_e32 v48, 0xff, v16
	v_mad_co_u64_u32 v[16:17], null, v48, 48, s[0:1]
	s_clause 0x2
	global_load_b128 v[24:27], v[16:17], off offset:160
	global_load_b128 v[20:23], v[16:17], off offset:176
	;; [unrolled: 1-line block ×3, first 2 shown]
	ds_load_2addr_b64 v[28:31], v75 offset1:175
	v_and_b32_e32 v46, 0xffff, v44
	v_add_nc_u32_e32 v73, 0xa00, v75
	v_add_nc_u32_e32 v74, 0x1400, v75
	s_delay_alu instid0(VALU_DEP_3) | instskip(SKIP_2) | instid1(VALU_DEP_2)
	v_mul_u32_u24_e32 v49, 0xaf, v46
	v_mad_co_u64_u32 v[46:47], null, v76, 48, s[0:1]
	s_add_nc_u64 s[0:1], s[12:13], 0x2648
	v_add_lshl_u32 v81, v49, v48, 3
	s_wait_loadcnt_dscnt 0x200
	v_mul_f32_e32 v48, v31, v25
	ds_load_2addr_b64 v[32:35], v73 offset0:30 offset1:205
	ds_load_2addr_b64 v[36:39], v74 offset0:60 offset1:235
	ds_load_b64 v[44:45], v75 offset:8400
	v_mul_f32_e32 v49, v30, v25
	global_wb scope:SCOPE_SE
	s_wait_loadcnt_dscnt 0x0
	v_fma_f32 v30, v30, v24, -v48
	s_barrier_signal -1
	s_barrier_wait -1
	global_inv scope:SCOPE_SE
	v_fmac_f32_e32 v49, v31, v24
	v_dual_mul_f32 v53, v34, v21 :: v_dual_mul_f32 v50, v33, v27
	v_mul_f32_e32 v59, v38, v17
	v_dual_mul_f32 v51, v32, v27 :: v_dual_mul_f32 v52, v35, v21
	v_mul_f32_e32 v55, v36, v23
	v_mul_f32_e32 v54, v37, v23
	v_dual_mul_f32 v58, v39, v17 :: v_dual_mul_f32 v83, v44, v19
	v_dual_mul_f32 v82, v45, v19 :: v_dual_fmac_f32 v53, v35, v20
	v_fma_f32 v31, v32, v26, -v50
	v_fma_f32 v32, v34, v20, -v52
	s_delay_alu instid0(VALU_DEP_4)
	v_fma_f32 v35, v38, v16, -v58
	v_fmac_f32_e32 v51, v33, v26
	v_fma_f32 v33, v36, v22, -v54
	v_fma_f32 v34, v44, v18, -v82
	v_fmac_f32_e32 v83, v45, v18
	v_fmac_f32_e32 v59, v39, v16
	v_add_f32_e32 v38, v31, v35
	v_add_f32_e32 v44, v32, v33
	;; [unrolled: 1-line block ×3, first 2 shown]
	v_fmac_f32_e32 v55, v37, v22
	v_dual_add_f32 v37, v49, v83 :: v_dual_sub_f32 v30, v30, v34
	v_dual_add_f32 v39, v51, v59 :: v_dual_sub_f32 v32, v33, v32
	s_delay_alu instid0(VALU_DEP_4)
	v_dual_sub_f32 v31, v31, v35 :: v_dual_sub_f32 v50, v38, v36
	v_dual_sub_f32 v35, v51, v59 :: v_dual_add_f32 v48, v38, v36
	v_sub_f32_e32 v36, v36, v44
	v_dual_sub_f32 v34, v49, v83 :: v_dual_sub_f32 v33, v55, v53
	v_dual_add_f32 v45, v53, v55 :: v_dual_sub_f32 v38, v44, v38
	v_dual_add_f32 v49, v39, v37 :: v_dual_add_f32 v52, v32, v31
	v_dual_sub_f32 v51, v39, v37 :: v_dual_sub_f32 v54, v32, v31
	s_delay_alu instid0(VALU_DEP_3) | instskip(SKIP_3) | instid1(VALU_DEP_3)
	v_dual_sub_f32 v37, v37, v45 :: v_dual_sub_f32 v32, v30, v32
	v_dual_sub_f32 v39, v45, v39 :: v_dual_add_f32 v44, v44, v48
	v_add_f32_e32 v53, v33, v35
	v_dual_sub_f32 v55, v33, v35 :: v_dual_mul_f32 v36, 0x3f4a47b2, v36
	v_dual_sub_f32 v31, v31, v30 :: v_dual_add_f32 v28, v28, v44
	v_dual_add_f32 v45, v45, v49 :: v_dual_mul_f32 v48, 0x3d64c772, v38
	v_sub_f32_e32 v35, v35, v34
	v_dual_add_f32 v30, v52, v30 :: v_dual_sub_f32 v33, v34, v33
	v_add_f32_e32 v34, v53, v34
	v_dual_mul_f32 v52, 0xbf08b237, v54 :: v_dual_mul_f32 v53, 0xbf08b237, v55
	v_dual_mul_f32 v54, 0x3f5ff5aa, v31 :: v_dual_add_f32 v29, v29, v45
	v_dual_mul_f32 v49, 0x3d64c772, v39 :: v_dual_fmamk_f32 v38, v38, 0x3d64c772, v36
	v_fma_f32 v48, 0x3f3bfb3b, v50, -v48
	v_fma_f32 v36, 0xbf3bfb3b, v50, -v36
	v_fmamk_f32 v50, v32, 0x3eae86e6, v52
	v_fma_f32 v52, 0x3f5ff5aa, v31, -v52
	v_fma_f32 v54, 0xbeae86e6, v32, -v54
	v_dual_fmamk_f32 v31, v44, 0xbf955555, v28 :: v_dual_fmamk_f32 v32, v45, 0xbf955555, v29
	v_mul_f32_e32 v37, 0x3f4a47b2, v37
	v_fma_f32 v49, 0x3f3bfb3b, v51, -v49
	v_fmac_f32_e32 v52, 0x3ee1c552, v30
	s_delay_alu instid0(VALU_DEP_4) | instskip(NEXT) | instid1(VALU_DEP_4)
	v_add_f32_e32 v44, v38, v31
	v_dual_add_f32 v38, v48, v31 :: v_dual_fmamk_f32 v39, v39, 0x3d64c772, v37
	v_fma_f32 v37, 0xbf3bfb3b, v51, -v37
	v_mul_f32_e32 v55, 0x3f5ff5aa, v35
	v_fmac_f32_e32 v50, 0x3ee1c552, v30
	s_delay_alu instid0(VALU_DEP_4) | instskip(NEXT) | instid1(VALU_DEP_4)
	v_dual_fmac_f32 v54, 0x3ee1c552, v30 :: v_dual_add_f32 v45, v39, v32
	v_add_f32_e32 v48, v37, v32
	v_add_f32_e32 v37, v49, v32
	v_fma_f32 v55, 0xbeae86e6, v33, -v55
	v_add_f32_e32 v39, v36, v31
	s_delay_alu instid0(VALU_DEP_2) | instskip(SKIP_2) | instid1(VALU_DEP_3)
	v_fmac_f32_e32 v55, 0x3ee1c552, v34
	v_fmamk_f32 v51, v33, 0x3eae86e6, v53
	v_fma_f32 v53, 0x3f5ff5aa, v35, -v53
	v_dual_sub_f32 v33, v48, v54 :: v_dual_add_f32 v32, v55, v39
	s_delay_alu instid0(VALU_DEP_2) | instskip(NEXT) | instid1(VALU_DEP_1)
	v_fmac_f32_e32 v53, 0x3ee1c552, v34
	v_dual_fmac_f32 v51, 0x3ee1c552, v34 :: v_dual_sub_f32 v34, v38, v53
	s_delay_alu instid0(VALU_DEP_1)
	v_add_f32_e32 v30, v51, v44
	v_dual_sub_f32 v44, v44, v51 :: v_dual_sub_f32 v31, v45, v50
	v_dual_add_f32 v35, v52, v37 :: v_dual_add_f32 v36, v53, v38
	v_dual_sub_f32 v37, v37, v52 :: v_dual_sub_f32 v38, v39, v55
	v_add_f32_e32 v39, v54, v48
	v_add_f32_e32 v45, v50, v45
	ds_store_2addr_b64 v81, v[28:29], v[30:31] offset1:25
	ds_store_2addr_b64 v81, v[32:33], v[34:35] offset0:50 offset1:75
	ds_store_2addr_b64 v81, v[36:37], v[38:39] offset0:100 offset1:125
	ds_store_b64 v81, v[44:45] offset:1200
	global_wb scope:SCOPE_SE
	s_wait_dscnt 0x0
	s_barrier_signal -1
	s_barrier_wait -1
	global_inv scope:SCOPE_SE
	s_clause 0x2
	global_load_b128 v[36:39], v[46:47], off offset:1360
	global_load_b128 v[32:35], v[46:47], off offset:1376
	;; [unrolled: 1-line block ×3, first 2 shown]
	ds_load_2addr_b64 v[44:47], v75 offset1:175
	ds_load_2addr_b64 v[48:51], v73 offset0:30 offset1:205
	ds_load_2addr_b64 v[52:55], v74 offset0:60 offset1:235
	ds_load_b64 v[58:59], v75 offset:8400
	s_wait_loadcnt_dscnt 0x202
	v_mul_f32_e32 v84, v49, v39
	v_mul_f32_e32 v82, v47, v37
	s_wait_loadcnt_dscnt 0x0
	v_dual_mul_f32 v83, v46, v37 :: v_dual_mul_f32 v92, v59, v31
	v_dual_mul_f32 v85, v48, v39 :: v_dual_mul_f32 v90, v55, v29
	v_mul_f32_e32 v86, v51, v33
	v_mul_f32_e32 v88, v53, v35
	v_fma_f32 v46, v46, v36, -v82
	v_fmac_f32_e32 v83, v47, v36
	v_fma_f32 v47, v48, v38, -v84
	v_mul_f32_e32 v87, v50, v33
	v_fmac_f32_e32 v85, v49, v38
	v_fma_f32 v48, v50, v32, -v86
	v_fma_f32 v49, v52, v34, -v88
	;; [unrolled: 1-line block ×3, first 2 shown]
	v_mul_f32_e32 v89, v52, v35
	v_mul_f32_e32 v93, v58, v31
	;; [unrolled: 1-line block ×3, first 2 shown]
	v_add_f32_e32 v58, v48, v49
	v_sub_f32_e32 v48, v49, v48
	v_dual_add_f32 v52, v46, v50 :: v_dual_fmac_f32 v87, v51, v32
	v_fma_f32 v51, v54, v28, -v90
	v_sub_f32_e32 v46, v46, v50
	s_delay_alu instid0(VALU_DEP_2)
	v_add_f32_e32 v54, v47, v51
	v_fmac_f32_e32 v93, v59, v30
	v_fmac_f32_e32 v89, v53, v34
	v_fmac_f32_e32 v91, v55, v28
	v_sub_f32_e32 v90, v46, v48
	v_dual_add_f32 v82, v54, v52 :: v_dual_sub_f32 v47, v47, v51
	v_sub_f32_e32 v50, v83, v93
	v_sub_f32_e32 v84, v54, v52
	v_dual_sub_f32 v52, v52, v58 :: v_dual_sub_f32 v49, v89, v87
	v_dual_sub_f32 v54, v58, v54 :: v_dual_add_f32 v55, v85, v91
	v_dual_add_f32 v58, v58, v82 :: v_dual_add_f32 v53, v83, v93
	v_add_f32_e32 v86, v48, v47
	v_sub_f32_e32 v51, v85, v91
	v_dual_add_f32 v59, v87, v89 :: v_dual_sub_f32 v88, v48, v47
	s_delay_alu instid0(VALU_DEP_4) | instskip(SKIP_1) | instid1(VALU_DEP_3)
	v_dual_add_f32 v83, v55, v53 :: v_dual_mul_f32 v52, 0x3f4a47b2, v52
	v_dual_sub_f32 v85, v55, v53 :: v_dual_mul_f32 v82, 0x3d64c772, v54
	v_sub_f32_e32 v53, v53, v59
	v_sub_f32_e32 v47, v47, v46
	v_dual_add_f32 v46, v86, v46 :: v_dual_add_f32 v87, v49, v51
	v_dual_mul_f32 v86, 0xbf08b237, v88 :: v_dual_sub_f32 v89, v49, v51
	v_dual_sub_f32 v55, v59, v55 :: v_dual_add_f32 v48, v44, v58
	s_delay_alu instid0(VALU_DEP_4)
	v_dual_sub_f32 v91, v50, v49 :: v_dual_mul_f32 v88, 0x3f5ff5aa, v47
	v_dual_sub_f32 v51, v51, v50 :: v_dual_fmamk_f32 v44, v54, 0x3d64c772, v52
	v_add_f32_e32 v50, v87, v50
	v_fma_f32 v54, 0x3f3bfb3b, v84, -v82
	v_dual_fmamk_f32 v82, v90, 0x3eae86e6, v86 :: v_dual_add_f32 v59, v59, v83
	v_mul_f32_e32 v87, 0xbf08b237, v89
	v_fma_f32 v52, 0xbf3bfb3b, v84, -v52
	v_fma_f32 v47, 0x3f5ff5aa, v47, -v86
	s_delay_alu instid0(VALU_DEP_4) | instskip(NEXT) | instid1(VALU_DEP_4)
	v_fmac_f32_e32 v82, 0x3ee1c552, v46
	v_fma_f32 v84, 0x3f5ff5aa, v51, -v87
	v_add_f32_e32 v49, v45, v59
	s_delay_alu instid0(VALU_DEP_4) | instskip(NEXT) | instid1(VALU_DEP_3)
	v_fmac_f32_e32 v47, 0x3ee1c552, v46
	v_fmac_f32_e32 v84, 0x3ee1c552, v50
	v_mul_f32_e32 v89, 0x3f5ff5aa, v51
	s_delay_alu instid0(VALU_DEP_4) | instskip(SKIP_1) | instid1(VALU_DEP_1)
	v_dual_fmamk_f32 v51, v58, 0xbf955555, v48 :: v_dual_fmamk_f32 v58, v59, 0xbf955555, v49
	v_mul_f32_e32 v53, 0x3f4a47b2, v53
	v_fmamk_f32 v45, v55, 0x3d64c772, v53
	v_fma_f32 v53, 0xbf3bfb3b, v85, -v53
	v_mul_f32_e32 v83, 0x3d64c772, v55
	s_delay_alu instid0(VALU_DEP_1) | instskip(SKIP_1) | instid1(VALU_DEP_4)
	v_fma_f32 v55, 0x3f3bfb3b, v85, -v83
	v_fma_f32 v85, 0xbeae86e6, v90, -v88
	v_add_f32_e32 v88, v53, v58
	s_delay_alu instid0(VALU_DEP_3) | instskip(NEXT) | instid1(VALU_DEP_3)
	v_add_f32_e32 v59, v55, v58
	v_dual_fmac_f32 v85, 0x3ee1c552, v46 :: v_dual_add_f32 v46, v44, v51
	s_delay_alu instid0(VALU_DEP_1) | instskip(NEXT) | instid1(VALU_DEP_1)
	v_dual_add_f32 v44, v54, v51 :: v_dual_sub_f32 v53, v88, v85
	v_sub_f32_e32 v54, v44, v84
	v_fma_f32 v86, 0xbeae86e6, v91, -v89
	s_delay_alu instid0(VALU_DEP_1) | instskip(SKIP_3) | instid1(VALU_DEP_2)
	v_fmac_f32_e32 v86, 0x3ee1c552, v50
	v_fmamk_f32 v83, v91, 0x3eae86e6, v87
	v_add_f32_e32 v87, v45, v58
	v_add_f32_e32 v45, v52, v51
	v_dual_add_f32 v58, v84, v44 :: v_dual_sub_f32 v51, v87, v82
	s_delay_alu instid0(VALU_DEP_2) | instskip(SKIP_1) | instid1(VALU_DEP_1)
	v_sub_f32_e32 v44, v45, v86
	v_dual_fmac_f32 v83, 0x3ee1c552, v50 :: v_dual_add_f32 v52, v86, v45
	v_dual_add_f32 v45, v85, v88 :: v_dual_add_f32 v50, v83, v46
	v_sub_f32_e32 v46, v46, v83
	v_add_f32_e32 v55, v47, v59
	v_sub_f32_e32 v59, v59, v47
	v_add_f32_e32 v47, v82, v87
	ds_store_2addr_b64 v75, v[48:49], v[50:51] offset1:175
	ds_store_2addr_b64 v73, v[52:53], v[54:55] offset0:30 offset1:205
	ds_store_2addr_b64 v74, v[58:59], v[44:45] offset0:60 offset1:235
	ds_store_b64 v75, v[46:47] offset:8400
	global_wb scope:SCOPE_SE
	s_wait_dscnt 0x0
	s_barrier_signal -1
	s_barrier_wait -1
	global_inv scope:SCOPE_SE
	s_clause 0x4
	global_load_b64 v[52:53], v[60:61], off offset:9800
	global_load_b64 v[54:55], v75, s[0:1] offset:1960
	global_load_b64 v[58:59], v75, s[0:1] offset:3920
	;; [unrolled: 1-line block ×4, first 2 shown]
	ds_load_2addr_b64 v[48:51], v75 offset1:245
	s_wait_loadcnt_dscnt 0x400
	v_mul_f32_e32 v84, v49, v53
	v_mul_f32_e32 v85, v48, v53
	s_wait_loadcnt 0x3
	v_mul_f32_e32 v53, v51, v55
	v_mul_f32_e32 v87, v50, v55
	v_fma_f32 v84, v48, v52, -v84
	v_fmac_f32_e32 v85, v49, v52
	s_delay_alu instid0(VALU_DEP_4) | instskip(NEXT) | instid1(VALU_DEP_4)
	v_fma_f32 v86, v50, v54, -v53
	v_dual_fmac_f32 v87, v51, v54 :: v_dual_add_nc_u32 v52, 0xf00, v75
	ds_store_2addr_b64 v75, v[84:85], v[86:87] offset1:245
	ds_load_2addr_b64 v[48:51], v52 offset0:10 offset1:255
	ds_load_b64 v[53:54], v75 offset:7840
	s_wait_loadcnt_dscnt 0x201
	v_mul_f32_e32 v55, v49, v59
	s_wait_loadcnt 0x1
	v_dual_mul_f32 v84, v48, v59 :: v_dual_mul_f32 v85, v51, v74
	v_mul_f32_e32 v59, v50, v74
	s_wait_loadcnt_dscnt 0x0
	v_mul_f32_e32 v86, v54, v83
	v_mul_f32_e32 v74, v53, v83
	v_fma_f32 v83, v48, v58, -v55
	v_fmac_f32_e32 v84, v49, v58
	v_fma_f32 v58, v50, v73, -v85
	s_delay_alu instid0(VALU_DEP_4)
	v_dual_fmac_f32 v59, v51, v73 :: v_dual_fmac_f32 v74, v54, v82
	v_fma_f32 v73, v53, v82, -v86
	ds_store_2addr_b64 v52, v[83:84], v[58:59] offset0:10 offset1:255
	ds_store_b64 v75, v[73:74] offset:7840
	s_and_saveexec_b32 s2, vcc_lo
	s_cbranch_execz .LBB0_13
; %bb.12:
	s_wait_alu 0xfffe
	v_add_co_u32 v48, s0, s0, v75
	s_wait_alu 0xf1ff
	v_add_co_ci_u32_e64 v49, null, s1, 0, s0
	s_clause 0x4
	global_load_b64 v[53:54], v[48:49], off offset:1400
	global_load_b64 v[58:59], v[48:49], off offset:3360
	;; [unrolled: 1-line block ×5, first 2 shown]
	v_add_nc_u32_e32 v94, 0x540, v75
	v_add_nc_u32_e32 v95, 0x1480, v75
	ds_load_2addr_b64 v[48:51], v94 offset0:7 offset1:252
	ds_load_2addr_b64 v[82:85], v95 offset0:9 offset1:254
	ds_load_b64 v[90:91], v75 offset:9240
	s_wait_loadcnt_dscnt 0x402
	v_mul_f32_e32 v92, v49, v54
	s_wait_loadcnt 0x3
	v_dual_mul_f32 v55, v48, v54 :: v_dual_mul_f32 v96, v51, v59
	v_mul_f32_e32 v93, v50, v59
	s_wait_loadcnt_dscnt 0x101
	v_dual_mul_f32 v97, v83, v74 :: v_dual_mul_f32 v98, v85, v87
	v_dual_mul_f32 v59, v82, v74 :: v_dual_mul_f32 v74, v84, v87
	s_wait_loadcnt_dscnt 0x0
	v_mul_f32_e32 v99, v91, v89
	v_mul_f32_e32 v87, v90, v89
	v_fma_f32 v54, v48, v53, -v92
	v_fmac_f32_e32 v55, v49, v53
	v_fma_f32 v92, v50, v58, -v96
	v_fmac_f32_e32 v74, v85, v86
	v_fmac_f32_e32 v93, v51, v58
	v_fma_f32 v58, v82, v73, -v97
	v_fmac_f32_e32 v59, v83, v73
	v_fma_f32 v73, v84, v86, -v98
	v_fma_f32 v86, v90, v88, -v99
	v_fmac_f32_e32 v87, v91, v88
	ds_store_2addr_b64 v94, v[54:55], v[92:93] offset0:7 offset1:252
	ds_store_2addr_b64 v95, v[58:59], v[73:74] offset0:9 offset1:254
	ds_store_b64 v75, v[86:87] offset:9240
.LBB0_13:
	s_wait_alu 0xfffe
	s_or_b32 exec_lo, exec_lo, s2
	global_wb scope:SCOPE_SE
	s_wait_dscnt 0x0
	s_barrier_signal -1
	s_barrier_wait -1
	global_inv scope:SCOPE_SE
	ds_load_2addr_b64 v[48:51], v75 offset1:245
	ds_load_2addr_b64 v[52:55], v52 offset0:10 offset1:255
	ds_load_b64 v[58:59], v75 offset:7840
	s_and_saveexec_b32 s0, vcc_lo
	s_cbranch_execz .LBB0_15
; %bb.14:
	v_add_nc_u32_e32 v40, 0x540, v75
	v_add_nc_u32_e32 v41, 0x1480, v75
	ds_load_2addr_b64 v[44:47], v40 offset0:7 offset1:252
	ds_load_2addr_b64 v[40:43], v41 offset0:9 offset1:254
	ds_load_b64 v[56:57], v75 offset:9240
.LBB0_15:
	s_wait_alu 0xfffe
	s_or_b32 exec_lo, exec_lo, s0
	s_wait_dscnt 0x1
	v_dual_add_f32 v73, v52, v54 :: v_dual_sub_f32 v86, v50, v52
	s_wait_dscnt 0x0
	v_dual_add_f32 v74, v48, v50 :: v_dual_sub_f32 v85, v51, v59
	v_sub_f32_e32 v83, v53, v55
	s_delay_alu instid0(VALU_DEP_3)
	v_fma_f32 v82, -0.5, v73, v48
	v_sub_f32_e32 v73, v58, v54
	v_add_f32_e32 v87, v50, v58
	v_add_f32_e32 v74, v74, v52
	global_wb scope:SCOPE_SE
	v_fmamk_f32 v84, v85, 0xbf737871, v82
	v_fmac_f32_e32 v82, 0x3f737871, v85
	v_add_f32_e32 v73, v86, v73
	v_fma_f32 v86, -0.5, v87, v48
	v_dual_add_f32 v48, v74, v54 :: v_dual_add_f32 v87, v53, v55
	v_dual_sub_f32 v89, v52, v50 :: v_dual_fmac_f32 v84, 0xbf167918, v83
	s_delay_alu instid0(VALU_DEP_3)
	v_fmamk_f32 v88, v83, 0x3f737871, v86
	v_fmac_f32_e32 v86, 0xbf737871, v83
	v_sub_f32_e32 v50, v50, v58
	v_sub_f32_e32 v52, v52, v54
	v_fmac_f32_e32 v82, 0x3f167918, v83
	v_fma_f32 v83, -0.5, v87, v49
	v_add_f32_e32 v90, v48, v58
	v_add_f32_e32 v48, v49, v51
	v_sub_f32_e32 v74, v54, v58
	v_fmac_f32_e32 v88, 0xbf167918, v85
	v_fmac_f32_e32 v86, 0x3f167918, v85
	v_dual_fmamk_f32 v85, v50, 0x3f737871, v83 :: v_dual_add_f32 v58, v51, v59
	v_dual_fmac_f32 v83, 0xbf737871, v50 :: v_dual_add_f32 v48, v48, v53
	s_delay_alu instid0(VALU_DEP_2) | instskip(NEXT) | instid1(VALU_DEP_3)
	v_dual_sub_f32 v54, v51, v53 :: v_dual_fmac_f32 v85, 0x3f167918, v52
	v_fma_f32 v87, -0.5, v58, v49
	v_sub_f32_e32 v49, v53, v51
	v_dual_sub_f32 v51, v55, v59 :: v_dual_fmac_f32 v82, 0x3e9e377a, v73
	v_dual_add_f32 v48, v48, v55 :: v_dual_fmac_f32 v83, 0xbf167918, v52
	v_dual_fmac_f32 v84, 0x3e9e377a, v73 :: v_dual_sub_f32 v73, v59, v55
	s_delay_alu instid0(VALU_DEP_3) | instskip(NEXT) | instid1(VALU_DEP_3)
	v_add_f32_e32 v49, v49, v51
	v_add_f32_e32 v91, v48, v59
	;; [unrolled: 1-line block ×3, first 2 shown]
	s_delay_alu instid0(VALU_DEP_4) | instskip(SKIP_3) | instid1(VALU_DEP_2)
	v_dual_add_f32 v53, v40, v42 :: v_dual_add_f32 v48, v54, v73
	v_add_f32_e32 v55, v46, v56
	s_barrier_signal -1
	s_barrier_wait -1
	v_fma_f32 v73, -0.5, v53, v44
	v_dual_fmac_f32 v83, 0x3e9e377a, v48 :: v_dual_add_f32 v74, v89, v74
	v_fmamk_f32 v89, v52, 0xbf737871, v87
	v_fmac_f32_e32 v87, 0x3f737871, v52
	v_sub_f32_e32 v53, v47, v57
	s_delay_alu instid0(VALU_DEP_4) | instskip(NEXT) | instid1(VALU_DEP_4)
	v_dual_fmac_f32 v85, 0x3e9e377a, v48 :: v_dual_fmac_f32 v88, 0x3e9e377a, v74
	v_fmac_f32_e32 v89, 0x3f167918, v50
	s_delay_alu instid0(VALU_DEP_4)
	v_dual_fmac_f32 v87, 0xbf167918, v50 :: v_dual_add_f32 v48, v51, v40
	v_sub_f32_e32 v51, v41, v43
	v_fmamk_f32 v50, v53, 0xbf737871, v73
	v_dual_sub_f32 v52, v46, v40 :: v_dual_fmac_f32 v73, 0x3f737871, v53
	v_sub_f32_e32 v54, v56, v42
	v_dual_fmac_f32 v86, 0x3e9e377a, v74 :: v_dual_fmac_f32 v89, 0x3e9e377a, v49
	v_dual_add_f32 v48, v48, v42 :: v_dual_fmac_f32 v87, 0x3e9e377a, v49
	v_fmac_f32_e32 v50, 0xbf167918, v51
	s_delay_alu instid0(VALU_DEP_4)
	v_dual_fmac_f32 v73, 0x3f167918, v51 :: v_dual_add_f32 v52, v52, v54
	v_add_f32_e32 v49, v41, v43
	v_fmac_f32_e32 v44, -0.5, v55
	v_dual_sub_f32 v54, v40, v46 :: v_dual_sub_f32 v55, v42, v56
	v_add_f32_e32 v48, v48, v56
	v_fmac_f32_e32 v50, 0x3e9e377a, v52
	v_fmac_f32_e32 v73, 0x3e9e377a, v52
	v_fma_f32 v74, -0.5, v49, v45
	v_dual_add_f32 v49, v54, v55 :: v_dual_sub_f32 v40, v40, v42
	v_add_f32_e32 v54, v47, v57
	v_fmamk_f32 v52, v51, 0x3f737871, v44
	v_fmac_f32_e32 v44, 0xbf737871, v51
	v_add_f32_e32 v51, v45, v47
	global_inv scope:SCOPE_SE
	v_dual_fmac_f32 v45, -0.5, v54 :: v_dual_sub_f32 v46, v46, v56
	v_fmac_f32_e32 v52, 0xbf167918, v53
	v_fmac_f32_e32 v44, 0x3f167918, v53
	v_dual_add_f32 v53, v51, v41 :: v_dual_sub_f32 v54, v57, v43
	ds_store_2addr_b64 v77, v[90:91], v[84:85] offset1:1
	ds_store_2addr_b64 v77, v[88:89], v[86:87] offset0:2 offset1:3
	ds_store_b64 v77, v[82:83] offset:32
	v_fmac_f32_e32 v52, 0x3e9e377a, v49
	v_dual_add_f32 v42, v53, v43 :: v_dual_fmamk_f32 v53, v40, 0xbf737871, v45
	v_fmamk_f32 v51, v46, 0x3f737871, v74
	v_sub_f32_e32 v43, v43, v57
	v_fmac_f32_e32 v45, 0x3f737871, v40
	s_delay_alu instid0(VALU_DEP_4) | instskip(NEXT) | instid1(VALU_DEP_4)
	v_fmac_f32_e32 v53, 0x3f167918, v46
	v_fmac_f32_e32 v51, 0x3f167918, v40
	;; [unrolled: 1-line block ×3, first 2 shown]
	v_dual_sub_f32 v49, v47, v41 :: v_dual_fmac_f32 v74, 0xbf737871, v46
	v_sub_f32_e32 v41, v41, v47
	v_fmac_f32_e32 v45, 0xbf167918, v46
	s_delay_alu instid0(VALU_DEP_3) | instskip(NEXT) | instid1(VALU_DEP_4)
	v_add_f32_e32 v47, v49, v54
	v_dual_add_f32 v49, v42, v57 :: v_dual_fmac_f32 v74, 0xbf167918, v40
	s_delay_alu instid0(VALU_DEP_4) | instskip(NEXT) | instid1(VALU_DEP_3)
	v_add_f32_e32 v40, v41, v43
	v_fmac_f32_e32 v51, 0x3e9e377a, v47
	s_delay_alu instid0(VALU_DEP_2)
	v_dual_fmac_f32 v74, 0x3e9e377a, v47 :: v_dual_fmac_f32 v53, 0x3e9e377a, v40
	v_fmac_f32_e32 v45, 0x3e9e377a, v40
	s_and_saveexec_b32 s0, vcc_lo
	s_cbranch_execz .LBB0_17
; %bb.16:
	s_delay_alu instid0(VALU_DEP_1)
	v_dual_mov_b32 v41, v45 :: v_dual_lshlrev_b32 v42, 3, v78
	v_mov_b32_e32 v40, v44
	ds_store_2addr_b64 v42, v[48:49], v[50:51] offset1:1
	ds_store_2addr_b64 v42, v[52:53], v[40:41] offset0:2 offset1:3
	ds_store_b64 v42, v[73:74] offset:32
.LBB0_17:
	s_wait_alu 0xfffe
	s_or_b32 exec_lo, exec_lo, s0
	v_add_nc_u32_e32 v46, 0xf00, v75
	global_wb scope:SCOPE_SE
	s_wait_dscnt 0x0
	s_barrier_signal -1
	s_barrier_wait -1
	global_inv scope:SCOPE_SE
	ds_load_2addr_b64 v[40:43], v75 offset1:245
	ds_load_2addr_b64 v[56:59], v46 offset0:10 offset1:255
	ds_load_b64 v[46:47], v75 offset:7840
	s_and_saveexec_b32 s0, vcc_lo
	s_cbranch_execz .LBB0_19
; %bb.18:
	v_add_nc_u32_e32 v44, 0x1480, v75
	ds_load_2addr_b64 v[52:55], v44 offset0:9 offset1:254
	v_add_nc_u32_e32 v44, 0x540, v75
	ds_load_b64 v[73:74], v75 offset:9240
	ds_load_2addr_b64 v[48:51], v44 offset0:7 offset1:252
	s_wait_dscnt 0x2
	v_dual_mov_b32 v45, v55 :: v_dual_mov_b32 v44, v54
.LBB0_19:
	s_wait_alu 0xfffe
	s_or_b32 exec_lo, exec_lo, s0
	s_wait_dscnt 0x1
	v_dual_mul_f32 v54, v15, v57 :: v_dual_mul_f32 v55, v9, v59
	v_mul_f32_e32 v15, v15, v56
	v_mul_f32_e32 v77, v13, v43
	global_wb scope:SCOPE_SE
	s_wait_dscnt 0x0
	v_dual_fmac_f32 v54, v14, v56 :: v_dual_fmac_f32 v55, v8, v58
	v_fma_f32 v15, v14, v57, -v15
	v_dual_mul_f32 v14, v11, v47 :: v_dual_mul_f32 v13, v13, v42
	s_barrier_signal -1
	s_barrier_wait -1
	global_inv scope:SCOPE_SE
	v_fmac_f32_e32 v14, v10, v46
	v_fma_f32 v78, v12, v43, -v13
	v_fmac_f32_e32 v77, v12, v42
	v_mul_f32_e32 v56, v11, v46
	v_dual_add_f32 v12, v54, v55 :: v_dual_mul_f32 v13, v9, v58
	s_delay_alu instid0(VALU_DEP_3) | instskip(NEXT) | instid1(VALU_DEP_3)
	v_dual_sub_f32 v42, v14, v55 :: v_dual_add_f32 v11, v40, v77
	v_fma_f32 v56, v10, v47, -v56
	s_delay_alu instid0(VALU_DEP_3) | instskip(NEXT) | instid1(VALU_DEP_4)
	v_fma_f32 v9, -0.5, v12, v40
	v_fma_f32 v8, v8, v59, -v13
	s_delay_alu instid0(VALU_DEP_3) | instskip(SKIP_1) | instid1(VALU_DEP_3)
	v_sub_f32_e32 v12, v78, v56
	v_add_f32_e32 v10, v11, v54
	v_dual_sub_f32 v43, v15, v8 :: v_dual_add_f32 v46, v77, v14
	v_sub_f32_e32 v47, v55, v14
	s_delay_alu instid0(VALU_DEP_4) | instskip(NEXT) | instid1(VALU_DEP_4)
	v_fmamk_f32 v11, v12, 0xbf737871, v9
	v_dual_sub_f32 v13, v77, v54 :: v_dual_add_f32 v10, v10, v55
	v_fmac_f32_e32 v9, 0x3f737871, v12
	s_delay_alu instid0(VALU_DEP_2) | instskip(SKIP_1) | instid1(VALU_DEP_3)
	v_dual_fmac_f32 v11, 0xbf167918, v43 :: v_dual_add_f32 v42, v13, v42
	v_fma_f32 v13, -0.5, v46, v40
	v_dual_add_f32 v40, v10, v14 :: v_dual_fmac_f32 v9, 0x3f167918, v43
	s_delay_alu instid0(VALU_DEP_3) | instskip(NEXT) | instid1(VALU_DEP_2)
	v_dual_add_f32 v10, v15, v8 :: v_dual_fmac_f32 v11, 0x3e9e377a, v42
	v_dual_sub_f32 v46, v54, v77 :: v_dual_fmac_f32 v9, 0x3e9e377a, v42
	s_delay_alu instid0(VALU_DEP_4) | instskip(SKIP_3) | instid1(VALU_DEP_2)
	v_fmamk_f32 v42, v43, 0x3f737871, v13
	v_fmac_f32_e32 v13, 0xbf737871, v43
	v_add_f32_e32 v43, v41, v78
	v_fma_f32 v10, -0.5, v10, v41
	v_dual_fmac_f32 v42, 0xbf167918, v12 :: v_dual_add_f32 v43, v43, v15
	v_dual_sub_f32 v57, v77, v14 :: v_dual_add_f32 v14, v46, v47
	v_add_f32_e32 v46, v78, v56
	s_delay_alu instid0(VALU_DEP_3) | instskip(NEXT) | instid1(VALU_DEP_3)
	v_dual_sub_f32 v47, v54, v55 :: v_dual_add_f32 v54, v43, v8
	v_fmac_f32_e32 v42, 0x3e9e377a, v14
	v_fmac_f32_e32 v13, 0x3f167918, v12
	v_fmamk_f32 v12, v57, 0x3f737871, v10
	v_fmac_f32_e32 v10, 0xbf737871, v57
	s_delay_alu instid0(VALU_DEP_2) | instskip(NEXT) | instid1(VALU_DEP_4)
	v_fmac_f32_e32 v12, 0x3f167918, v47
	v_fmac_f32_e32 v13, 0x3e9e377a, v14
	v_fma_f32 v14, -0.5, v46, v41
	v_dual_sub_f32 v46, v56, v8 :: v_dual_sub_f32 v41, v78, v15
	v_dual_sub_f32 v15, v15, v78 :: v_dual_sub_f32 v8, v8, v56
	s_delay_alu instid0(VALU_DEP_3) | instskip(SKIP_1) | instid1(VALU_DEP_4)
	v_fmamk_f32 v43, v47, 0xbf737871, v14
	v_fmac_f32_e32 v14, 0x3f737871, v47
	v_add_f32_e32 v46, v41, v46
	v_dual_fmac_f32 v10, 0xbf167918, v47 :: v_dual_add_f32 v41, v54, v56
	s_delay_alu instid0(VALU_DEP_4) | instskip(NEXT) | instid1(VALU_DEP_4)
	v_dual_fmac_f32 v43, 0x3f167918, v57 :: v_dual_add_f32 v8, v15, v8
	v_fmac_f32_e32 v14, 0xbf167918, v57
	s_delay_alu instid0(VALU_DEP_4) | instskip(NEXT) | instid1(VALU_DEP_3)
	v_fmac_f32_e32 v12, 0x3e9e377a, v46
	v_dual_fmac_f32 v10, 0x3e9e377a, v46 :: v_dual_fmac_f32 v43, 0x3e9e377a, v8
	s_delay_alu instid0(VALU_DEP_3)
	v_fmac_f32_e32 v14, 0x3e9e377a, v8
	ds_store_2addr_b64 v79, v[40:41], v[11:12] offset1:5
	ds_store_2addr_b64 v79, v[42:43], v[13:14] offset0:10 offset1:15
	ds_store_b64 v79, v[9:10] offset:160
	s_and_saveexec_b32 s0, vcc_lo
	s_cbranch_execz .LBB0_21
; %bb.20:
	v_dual_mul_f32 v8, v5, v50 :: v_dual_mul_f32 v9, v3, v73
	v_dual_mul_f32 v10, v7, v52 :: v_dual_mul_f32 v13, v5, v51
	v_mul_f32_e32 v12, v1, v45
	v_mul_f32_e32 v11, v7, v53
	s_delay_alu instid0(VALU_DEP_4) | instskip(SKIP_4) | instid1(VALU_DEP_4)
	v_fma_f32 v8, v4, v51, -v8
	v_fma_f32 v9, v2, v74, -v9
	v_fma_f32 v10, v6, v53, -v10
	v_fmac_f32_e32 v12, v0, v44
	v_mul_f32_e32 v1, v1, v44
	v_dual_fmac_f32 v11, v6, v52 :: v_dual_add_f32 v6, v8, v9
	v_fmac_f32_e32 v13, v4, v50
	s_delay_alu instid0(VALU_DEP_3) | instskip(NEXT) | instid1(VALU_DEP_3)
	v_fma_f32 v15, v0, v45, -v1
	v_sub_f32_e32 v0, v11, v12
	s_delay_alu instid0(VALU_DEP_4) | instskip(SKIP_1) | instid1(VALU_DEP_4)
	v_fma_f32 v1, -0.5, v6, v49
	v_dual_mul_f32 v14, v3, v74 :: v_dual_add_f32 v41, v49, v8
	v_dual_sub_f32 v4, v15, v9 :: v_dual_add_f32 v5, v10, v15
	s_delay_alu instid0(VALU_DEP_2) | instskip(SKIP_1) | instid1(VALU_DEP_3)
	v_dual_fmamk_f32 v3, v0, 0x3f737871, v1 :: v_dual_fmac_f32 v14, v2, v73
	v_fmac_f32_e32 v1, 0xbf737871, v0
	v_fma_f32 v5, -0.5, v5, v49
	s_delay_alu instid0(VALU_DEP_3) | instskip(NEXT) | instid1(VALU_DEP_1)
	v_sub_f32_e32 v6, v13, v14
	v_dual_sub_f32 v2, v10, v8 :: v_dual_fmac_f32 v1, 0x3f167918, v6
	s_delay_alu instid0(VALU_DEP_1) | instskip(NEXT) | instid1(VALU_DEP_4)
	v_dual_add_f32 v2, v2, v4 :: v_dual_fmac_f32 v3, 0xbf167918, v6
	v_dual_sub_f32 v4, v8, v10 :: v_dual_fmamk_f32 v7, v6, 0xbf737871, v5
	v_dual_fmac_f32 v5, 0x3f737871, v6 :: v_dual_sub_f32 v40, v9, v15
	s_delay_alu instid0(VALU_DEP_3) | instskip(NEXT) | instid1(VALU_DEP_3)
	v_fmac_f32_e32 v3, 0x3e9e377a, v2
	v_dual_add_f32 v6, v41, v10 :: v_dual_fmac_f32 v7, 0xbf167918, v0
	s_delay_alu instid0(VALU_DEP_3) | instskip(NEXT) | instid1(VALU_DEP_4)
	v_dual_fmac_f32 v1, 0x3e9e377a, v2 :: v_dual_add_f32 v4, v4, v40
	v_dual_add_f32 v40, v13, v14 :: v_dual_fmac_f32 v5, 0x3f167918, v0
	v_sub_f32_e32 v10, v10, v15
	s_delay_alu instid0(VALU_DEP_3) | instskip(NEXT) | instid1(VALU_DEP_3)
	v_dual_add_f32 v6, v6, v15 :: v_dual_fmac_f32 v7, 0x3e9e377a, v4
	v_fma_f32 v0, -0.5, v40, v48
	v_dual_sub_f32 v15, v11, v13 :: v_dual_sub_f32 v40, v12, v14
	v_dual_sub_f32 v8, v8, v9 :: v_dual_add_f32 v41, v11, v12
	s_delay_alu instid0(VALU_DEP_3) | instskip(SKIP_1) | instid1(VALU_DEP_4)
	v_fmamk_f32 v2, v10, 0xbf737871, v0
	v_fmac_f32_e32 v5, 0x3e9e377a, v4
	v_dual_add_f32 v15, v15, v40 :: v_dual_add_f32 v40, v48, v13
	s_delay_alu instid0(VALU_DEP_4) | instskip(NEXT) | instid1(VALU_DEP_4)
	v_fma_f32 v4, -0.5, v41, v48
	v_dual_add_f32 v9, v6, v9 :: v_dual_fmac_f32 v2, 0x3f167918, v8
	v_sub_f32_e32 v13, v13, v11
	s_delay_alu instid0(VALU_DEP_3) | instskip(SKIP_1) | instid1(VALU_DEP_4)
	v_dual_sub_f32 v41, v14, v12 :: v_dual_fmamk_f32 v6, v8, 0x3f737871, v4
	v_dual_fmac_f32 v4, 0xbf737871, v8 :: v_dual_add_f32 v11, v40, v11
	v_fmac_f32_e32 v2, 0x3e9e377a, v15
	s_delay_alu instid0(VALU_DEP_3) | instskip(NEXT) | instid1(VALU_DEP_3)
	v_dual_fmac_f32 v0, 0x3f737871, v10 :: v_dual_add_f32 v13, v13, v41
	v_dual_fmac_f32 v4, 0xbf167918, v10 :: v_dual_add_f32 v11, v11, v12
	v_and_b32_e32 v12, 0xffff, v80
	s_delay_alu instid0(VALU_DEP_3) | instskip(SKIP_1) | instid1(VALU_DEP_4)
	v_fmac_f32_e32 v0, 0xbf167918, v8
	v_fmac_f32_e32 v6, 0x3f167918, v10
	v_fmac_f32_e32 v4, 0x3e9e377a, v13
	v_add_f32_e32 v8, v11, v14
	v_lshlrev_b32_e32 v10, 3, v12
	v_fmac_f32_e32 v0, 0x3e9e377a, v15
	v_fmac_f32_e32 v6, 0x3e9e377a, v13
	ds_store_2addr_b64 v10, v[8:9], v[4:5] offset1:5
	ds_store_2addr_b64 v10, v[0:1], v[2:3] offset0:10 offset1:15
	ds_store_b64 v10, v[6:7] offset:160
.LBB0_21:
	s_wait_alu 0xfffe
	s_or_b32 exec_lo, exec_lo, s0
	global_wb scope:SCOPE_SE
	s_wait_dscnt 0x0
	s_barrier_signal -1
	s_barrier_wait -1
	global_inv scope:SCOPE_SE
	ds_load_2addr_b64 v[0:3], v75 offset1:175
	ds_load_b64 v[12:13], v75 offset:8400
	v_add_nc_u32_e32 v14, 0xa00, v75
	s_mov_b32 s2, 0xe03c2fa6
	s_mov_b32 s3, 0x3f4abfd7
	s_wait_dscnt 0x0
	v_dual_mul_f32 v40, v25, v3 :: v_dual_mul_f32 v41, v19, v13
	v_add_nc_u32_e32 v15, 0x1400, v75
	v_mul_f32_e32 v25, v25, v2
	s_delay_alu instid0(VALU_DEP_3)
	v_fmac_f32_e32 v40, v24, v2
	ds_load_2addr_b64 v[4:7], v14 offset0:30 offset1:205
	ds_load_2addr_b64 v[8:11], v15 offset0:60 offset1:235
	v_mul_f32_e32 v19, v19, v12
	v_fma_f32 v2, v24, v3, -v25
	global_wb scope:SCOPE_SE
	s_wait_dscnt 0x0
	s_barrier_signal -1
	s_barrier_wait -1
	global_inv scope:SCOPE_SE
	v_dual_mul_f32 v24, v27, v4 :: v_dual_mul_f32 v25, v21, v7
	v_dual_mul_f32 v42, v17, v11 :: v_dual_mul_f32 v3, v27, v5
	s_delay_alu instid0(VALU_DEP_2) | instskip(NEXT) | instid1(VALU_DEP_2)
	v_fmac_f32_e32 v25, v20, v6
	v_dual_fmac_f32 v42, v16, v10 :: v_dual_fmac_f32 v3, v26, v4
	s_delay_alu instid0(VALU_DEP_4)
	v_fma_f32 v4, v26, v5, -v24
	v_mul_f32_e32 v17, v17, v10
	v_fmac_f32_e32 v41, v18, v12
	v_mul_f32_e32 v21, v21, v6
	v_fma_f32 v12, v18, v13, -v19
	v_mul_f32_e32 v27, v23, v9
	s_delay_alu instid0(VALU_DEP_4) | instskip(NEXT) | instid1(VALU_DEP_1)
	v_dual_mul_f32 v23, v23, v8 :: v_dual_sub_f32 v10, v40, v41
	v_fma_f32 v6, v22, v9, -v23
	s_delay_alu instid0(VALU_DEP_4) | instskip(SKIP_4) | instid1(VALU_DEP_2)
	v_add_f32_e32 v9, v2, v12
	v_sub_f32_e32 v2, v2, v12
	v_dual_fmac_f32 v27, v22, v8 :: v_dual_add_f32 v8, v40, v41
	v_fma_f32 v5, v20, v7, -v21
	v_fma_f32 v7, v16, v11, -v17
	v_dual_sub_f32 v16, v27, v25 :: v_dual_add_f32 v13, v5, v6
	s_delay_alu instid0(VALU_DEP_2) | instskip(SKIP_1) | instid1(VALU_DEP_1)
	v_dual_add_f32 v12, v4, v7 :: v_dual_add_f32 v11, v3, v42
	v_dual_sub_f32 v3, v3, v42 :: v_dual_sub_f32 v4, v4, v7
	v_dual_sub_f32 v5, v6, v5 :: v_dual_add_f32 v20, v16, v3
	s_delay_alu instid0(VALU_DEP_3)
	v_add_f32_e32 v17, v12, v9
	v_sub_f32_e32 v19, v12, v9
	v_sub_f32_e32 v22, v16, v3
	;; [unrolled: 1-line block ×3, first 2 shown]
	v_dual_add_f32 v6, v11, v8 :: v_dual_add_f32 v7, v25, v27
	v_dual_sub_f32 v18, v11, v8 :: v_dual_sub_f32 v9, v9, v13
	v_sub_f32_e32 v16, v10, v16
	s_delay_alu instid0(VALU_DEP_3) | instskip(SKIP_2) | instid1(VALU_DEP_3)
	v_dual_add_f32 v6, v7, v6 :: v_dual_add_f32 v21, v5, v4
	v_sub_f32_e32 v8, v8, v7
	v_sub_f32_e32 v11, v7, v11
	v_dual_sub_f32 v23, v5, v4 :: v_dual_add_f32 v0, v0, v6
	v_sub_f32_e32 v3, v3, v10
	v_dual_sub_f32 v4, v4, v2 :: v_dual_mul_f32 v9, 0x3f4a47b2, v9
	v_add_f32_e32 v10, v20, v10
	s_delay_alu instid0(VALU_DEP_4)
	v_fmamk_f32 v6, v6, 0xbf955555, v0
	v_dual_sub_f32 v5, v2, v5 :: v_dual_add_f32 v2, v21, v2
	v_dual_add_f32 v7, v13, v17 :: v_dual_mul_f32 v8, 0x3f4a47b2, v8
	v_mul_f32_e32 v13, 0x3d64c772, v11
	v_mul_f32_e32 v17, 0x3d64c772, v12
	;; [unrolled: 1-line block ×3, first 2 shown]
	s_delay_alu instid0(VALU_DEP_4)
	v_dual_fmamk_f32 v12, v12, 0x3d64c772, v9 :: v_dual_add_f32 v1, v1, v7
	v_mul_f32_e32 v21, 0x3f08b237, v23
	v_fmamk_f32 v11, v11, 0x3d64c772, v8
	v_fma_f32 v13, 0x3f3bfb3b, v18, -v13
	v_fma_f32 v8, 0xbf3bfb3b, v18, -v8
	v_fmamk_f32 v18, v16, 0xbeae86e6, v20
	v_fmamk_f32 v7, v7, 0xbf955555, v1
	v_mul_f32_e32 v22, 0xbf5ff5aa, v3
	v_fma_f32 v17, 0x3f3bfb3b, v19, -v17
	v_mul_f32_e32 v23, 0xbf5ff5aa, v4
	v_fma_f32 v20, 0xbf5ff5aa, v3, -v20
	v_add_f32_e32 v24, v12, v7
	v_fma_f32 v9, 0xbf3bfb3b, v19, -v9
	v_add_f32_e32 v12, v17, v7
	v_fmamk_f32 v19, v5, 0xbeae86e6, v21
	v_fma_f32 v21, 0xbf5ff5aa, v4, -v21
	v_fma_f32 v16, 0x3eae86e6, v16, -v22
	;; [unrolled: 1-line block ×3, first 2 shown]
	v_add_f32_e32 v23, v11, v6
	v_fmac_f32_e32 v19, 0xbee1c552, v2
	v_add_f32_e32 v11, v13, v6
	v_fmac_f32_e32 v21, 0xbee1c552, v2
	;; [unrolled: 2-line block ×3, first 2 shown]
	v_fmac_f32_e32 v18, 0xbee1c552, v10
	s_delay_alu instid0(VALU_DEP_4) | instskip(SKIP_1) | instid1(VALU_DEP_3)
	v_add_f32_e32 v8, v21, v11
	v_dual_add_f32 v17, v9, v7 :: v_dual_fmac_f32 v20, 0xbee1c552, v10
	v_sub_f32_e32 v3, v24, v18
	s_delay_alu instid0(VALU_DEP_2) | instskip(NEXT) | instid1(VALU_DEP_3)
	v_dual_sub_f32 v5, v17, v16 :: v_dual_fmac_f32 v22, 0xbee1c552, v2
	v_dual_add_f32 v7, v20, v12 :: v_dual_add_f32 v2, v19, v23
	v_dual_sub_f32 v9, v12, v20 :: v_dual_sub_f32 v12, v23, v19
	s_delay_alu instid0(VALU_DEP_3)
	v_add_f32_e32 v4, v22, v13
	v_sub_f32_e32 v6, v11, v21
	v_dual_sub_f32 v10, v13, v22 :: v_dual_add_f32 v11, v16, v17
	v_add_f32_e32 v13, v18, v24
	ds_store_2addr_b64 v81, v[0:1], v[2:3] offset1:25
	ds_store_2addr_b64 v81, v[4:5], v[6:7] offset0:50 offset1:75
	ds_store_2addr_b64 v81, v[8:9], v[10:11] offset0:100 offset1:125
	ds_store_b64 v81, v[12:13] offset:1200
	global_wb scope:SCOPE_SE
	s_wait_dscnt 0x0
	s_barrier_signal -1
	s_barrier_wait -1
	global_inv scope:SCOPE_SE
	ds_load_2addr_b64 v[0:3], v75 offset1:175
	ds_load_2addr_b64 v[4:7], v14 offset0:30 offset1:205
	ds_load_2addr_b64 v[8:11], v15 offset0:60 offset1:235
	ds_load_b64 v[12:13], v75 offset:8400
	s_wait_dscnt 0x3
	v_mul_f32_e32 v16, v37, v3
	s_wait_dscnt 0x2
	v_mul_f32_e32 v18, v33, v7
	s_wait_dscnt 0x1
	v_dual_mul_f32 v19, v33, v6 :: v_dual_mul_f32 v20, v35, v9
	v_fmac_f32_e32 v16, v36, v2
	s_delay_alu instid0(VALU_DEP_3) | instskip(SKIP_4) | instid1(VALU_DEP_3)
	v_fmac_f32_e32 v18, v32, v6
	s_wait_dscnt 0x0
	v_dual_mul_f32 v6, v31, v13 :: v_dual_mul_f32 v17, v37, v2
	v_fmac_f32_e32 v20, v34, v8
	v_mul_f32_e32 v8, v35, v8
	v_fmac_f32_e32 v6, v30, v12
	s_delay_alu instid0(VALU_DEP_4) | instskip(SKIP_3) | instid1(VALU_DEP_3)
	v_fma_f32 v2, v36, v3, -v17
	v_mul_f32_e32 v3, v39, v5
	v_mul_f32_e32 v17, v39, v4
	v_fma_f32 v8, v34, v9, -v8
	v_fmac_f32_e32 v3, v38, v4
	s_delay_alu instid0(VALU_DEP_3) | instskip(SKIP_3) | instid1(VALU_DEP_2)
	v_fma_f32 v4, v38, v5, -v17
	v_fma_f32 v5, v32, v7, -v19
	v_mul_f32_e32 v19, v29, v10
	v_mul_f32_e32 v17, v29, v11
	v_fma_f32 v9, v28, v11, -v19
	s_delay_alu instid0(VALU_DEP_1) | instskip(SKIP_1) | instid1(VALU_DEP_2)
	v_dual_mul_f32 v7, v31, v12 :: v_dual_add_f32 v12, v4, v9
	v_sub_f32_e32 v4, v4, v9
	v_fma_f32 v7, v30, v13, -v7
	v_add_f32_e32 v13, v5, v8
	v_fmac_f32_e32 v17, v28, v10
	v_add_f32_e32 v10, v16, v6
	s_delay_alu instid0(VALU_DEP_4) | instskip(SKIP_1) | instid1(VALU_DEP_4)
	v_dual_sub_f32 v6, v16, v6 :: v_dual_add_f32 v11, v2, v7
	v_sub_f32_e32 v2, v2, v7
	v_dual_sub_f32 v16, v20, v18 :: v_dual_add_f32 v7, v3, v17
	v_sub_f32_e32 v3, v3, v17
	s_delay_alu instid0(VALU_DEP_1) | instskip(NEXT) | instid1(VALU_DEP_3)
	v_dual_add_f32 v9, v18, v20 :: v_dual_add_f32 v20, v16, v3
	v_dual_sub_f32 v18, v7, v10 :: v_dual_sub_f32 v5, v8, v5
	v_add_f32_e32 v8, v7, v10
	s_delay_alu instid0(VALU_DEP_3)
	v_sub_f32_e32 v10, v10, v9
	v_sub_f32_e32 v22, v16, v3
	;; [unrolled: 1-line block ×4, first 2 shown]
	v_add_f32_e32 v8, v9, v8
	v_add_f32_e32 v21, v5, v4
	v_dual_sub_f32 v16, v6, v16 :: v_dual_sub_f32 v3, v3, v6
	v_sub_f32_e32 v23, v5, v4
	s_delay_alu instid0(VALU_DEP_4)
	v_dual_sub_f32 v5, v2, v5 :: v_dual_add_f32 v0, v0, v8
	v_add_f32_e32 v6, v20, v6
	v_mul_f32_e32 v10, 0x3f4a47b2, v10
	v_dual_mul_f32 v20, 0x3f08b237, v22 :: v_dual_add_f32 v17, v12, v11
	v_dual_sub_f32 v11, v11, v13 :: v_dual_sub_f32 v4, v4, v2
	v_sub_f32_e32 v12, v13, v12
	v_add_f32_e32 v2, v21, v2
	v_fmamk_f32 v8, v8, 0xbf955555, v0
	s_delay_alu instid0(VALU_DEP_4)
	v_mul_f32_e32 v11, 0x3f4a47b2, v11
	v_add_f32_e32 v9, v13, v17
	v_mul_f32_e32 v13, 0x3d64c772, v7
	v_fmamk_f32 v7, v7, 0x3d64c772, v10
	v_fma_f32 v10, 0xbf3bfb3b, v18, -v10
	v_mul_f32_e32 v17, 0x3d64c772, v12
	v_mul_f32_e32 v22, 0xbf5ff5aa, v3
	v_dual_fmamk_f32 v12, v12, 0x3d64c772, v11 :: v_dual_add_f32 v1, v1, v9
	s_delay_alu instid0(VALU_DEP_4)
	v_add_f32_e32 v10, v10, v8
	v_fma_f32 v13, 0x3f3bfb3b, v18, -v13
	v_fmamk_f32 v18, v16, 0xbeae86e6, v20
	v_mul_f32_e32 v21, 0x3f08b237, v23
	v_mul_f32_e32 v23, 0xbf5ff5aa, v4
	v_fmamk_f32 v9, v9, 0xbf955555, v1
	v_fma_f32 v20, 0xbf5ff5aa, v3, -v20
	v_fma_f32 v16, 0x3eae86e6, v16, -v22
	v_fma_f32 v17, 0x3f3bfb3b, v19, -v17
	v_fma_f32 v22, 0x3eae86e6, v5, -v23
	v_add_f32_e32 v24, v12, v9
	v_fma_f32 v11, 0xbf3bfb3b, v19, -v11
	v_add_f32_e32 v12, v13, v8
	v_fmac_f32_e32 v16, 0xbee1c552, v6
	v_fmac_f32_e32 v20, 0xbee1c552, v6
	v_fmac_f32_e32 v22, 0xbee1c552, v2
	v_fmamk_f32 v19, v5, 0xbeae86e6, v21
	v_fma_f32 v21, 0xbf5ff5aa, v4, -v21
	v_dual_add_f32 v23, v7, v8 :: v_dual_fmac_f32 v18, 0xbee1c552, v6
	s_delay_alu instid0(VALU_DEP_4) | instskip(SKIP_1) | instid1(VALU_DEP_4)
	v_add_f32_e32 v4, v22, v10
	v_sub_f32_e32 v10, v10, v22
	v_fmac_f32_e32 v21, 0xbee1c552, v2
	v_fmac_f32_e32 v19, 0xbee1c552, v2
	v_sub_f32_e32 v3, v24, v18
	s_delay_alu instid0(VALU_DEP_3)
	v_sub_f32_e32 v6, v12, v21
	v_add_f32_e32 v13, v17, v9
	v_add_f32_e32 v11, v11, v9
	;; [unrolled: 1-line block ×4, first 2 shown]
	v_sub_f32_e32 v12, v23, v19
	v_mad_co_u64_u32 v[22:23], null, s4, v76, 0
	v_sub_f32_e32 v5, v11, v16
	v_add_f32_e32 v7, v20, v13
	v_sub_f32_e32 v9, v13, v20
	v_add_f32_e32 v11, v16, v11
	v_add_f32_e32 v13, v18, v24
	ds_store_2addr_b64 v75, v[0:1], v[2:3] offset1:175
	ds_store_2addr_b64 v14, v[4:5], v[6:7] offset0:30 offset1:205
	ds_store_2addr_b64 v15, v[8:9], v[10:11] offset0:60 offset1:235
	ds_store_b64 v75, v[12:13] offset:8400
	v_add_nc_u32_e32 v4, 0xf00, v75
	global_wb scope:SCOPE_SE
	s_wait_dscnt 0x0
	s_barrier_signal -1
	s_barrier_wait -1
	global_inv scope:SCOPE_SE
	ds_load_2addr_b64 v[0:3], v75 offset1:245
	ds_load_2addr_b64 v[4:7], v4 offset0:10 offset1:255
	ds_load_b64 v[8:9], v75 offset:7840
	v_mad_co_u64_u32 v[20:21], null, s6, v62, 0
	s_delay_alu instid0(VALU_DEP_1) | instskip(SKIP_3) | instid1(VALU_DEP_1)
	v_mad_co_u64_u32 v[24:25], null, s7, v62, v[21:22]
	s_mul_u64 s[6:7], s[4:5], 0xf5
	s_wait_alu 0xfffe
	s_lshl_b64 s[6:7], s[6:7], 3
	v_mad_co_u64_u32 v[25:26], null, s5, v76, v[23:24]
	s_wait_dscnt 0x1
	v_mul_f32_e32 v14, v64, v5
	v_mul_f32_e32 v10, v66, v1
	s_wait_dscnt 0x0
	v_dual_mul_f32 v11, v66, v0 :: v_dual_mul_f32 v18, v72, v9
	v_mul_f32_e32 v12, v68, v3
	v_dual_mul_f32 v13, v68, v2 :: v_dual_fmac_f32 v14, v63, v4
	v_dual_mul_f32 v4, v64, v4 :: v_dual_mul_f32 v17, v70, v6
	v_dual_mul_f32 v16, v70, v7 :: v_dual_mul_f32 v19, v72, v8
	v_fmac_f32_e32 v10, v65, v0
	v_fma_f32 v11, v65, v1, -v11
	v_fmac_f32_e32 v12, v67, v2
	v_fma_f32 v13, v67, v3, -v13
	v_fma_f32 v4, v63, v5, -v4
	v_dual_fmac_f32 v16, v69, v6 :: v_dual_mov_b32 v21, v24
	v_fma_f32 v17, v69, v7, -v17
	v_dual_fmac_f32 v18, v71, v8 :: v_dual_mov_b32 v23, v25
	v_fma_f32 v19, v71, v9, -v19
	v_cvt_f64_f32_e32 v[0:1], v10
	v_cvt_f64_f32_e32 v[2:3], v11
	;; [unrolled: 1-line block ×10, first 2 shown]
	v_mul_f64_e32 v[0:1], s[2:3], v[0:1]
	v_mul_f64_e32 v[2:3], s[2:3], v[2:3]
	v_mul_f64_e32 v[10:11], s[2:3], v[10:11]
	v_mul_f64_e32 v[12:13], s[2:3], v[12:13]
	v_mul_f64_e32 v[14:15], s[2:3], v[14:15]
	v_mul_f64_e32 v[4:5], s[2:3], v[4:5]
	v_mul_f64_e32 v[6:7], s[2:3], v[6:7]
	v_mul_f64_e32 v[8:9], s[2:3], v[8:9]
	v_mul_f64_e32 v[16:17], s[2:3], v[16:17]
	v_mul_f64_e32 v[18:19], s[2:3], v[18:19]
	v_cvt_f32_f64_e32 v26, v[0:1]
	v_cvt_f32_f64_e32 v27, v[2:3]
	v_lshlrev_b64_e32 v[0:1], 3, v[20:21]
	v_cvt_f32_f64_e32 v2, v[10:11]
	v_cvt_f32_f64_e32 v3, v[12:13]
	v_cvt_f32_f64_e32 v10, v[14:15]
	v_cvt_f32_f64_e32 v11, v[4:5]
	v_cvt_f32_f64_e32 v4, v[6:7]
	v_cvt_f32_f64_e32 v5, v[8:9]
	v_cvt_f32_f64_e32 v6, v[16:17]
	v_cvt_f32_f64_e32 v7, v[18:19]
	v_lshlrev_b64_e32 v[8:9], 3, v[22:23]
	v_add_co_u32 v0, s0, s10, v0
	s_wait_alu 0xf1ff
	v_add_co_ci_u32_e64 v1, s0, s11, v1, s0
	s_delay_alu instid0(VALU_DEP_2) | instskip(SKIP_1) | instid1(VALU_DEP_2)
	v_add_co_u32 v8, s0, v0, v8
	s_wait_alu 0xf1ff
	v_add_co_ci_u32_e64 v9, s0, v1, v9, s0
	s_wait_alu 0xfffe
	s_delay_alu instid0(VALU_DEP_2) | instskip(SKIP_1) | instid1(VALU_DEP_2)
	v_add_co_u32 v12, s0, v8, s6
	s_wait_alu 0xf1ff
	v_add_co_ci_u32_e64 v13, s0, s7, v9, s0
	s_delay_alu instid0(VALU_DEP_2) | instskip(SKIP_1) | instid1(VALU_DEP_2)
	v_add_co_u32 v14, s0, v12, s6
	s_wait_alu 0xf1ff
	v_add_co_ci_u32_e64 v15, s0, s7, v13, s0
	;; [unrolled: 4-line block ×4, first 2 shown]
	s_clause 0x4
	global_store_b64 v[8:9], v[26:27], off
	global_store_b64 v[12:13], v[2:3], off
	;; [unrolled: 1-line block ×5, first 2 shown]
	s_and_b32 exec_lo, exec_lo, vcc_lo
	s_cbranch_execz .LBB0_23
; %bb.22:
	s_clause 0x4
	global_load_b64 v[10:11], v[60:61], off offset:1400
	global_load_b64 v[12:13], v[60:61], off offset:3360
	;; [unrolled: 1-line block ×5, first 2 shown]
	v_add_nc_u32_e32 v2, 0x540, v75
	v_add_nc_u32_e32 v6, 0x1480, v75
	v_mad_co_u64_u32 v[0:1], null, 0xffffe6d8, s4, v[0:1]
	ds_load_2addr_b64 v[2:5], v2 offset0:7 offset1:252
	ds_load_2addr_b64 v[6:9], v6 offset0:9 offset1:254
	ds_load_b64 v[20:21], v75 offset:9240
	s_mul_i32 s0, s5, 0xffffe6d8
	s_wait_alu 0xfffe
	s_sub_co_i32 s0, s0, s4
	s_wait_loadcnt_dscnt 0x402
	s_wait_alu 0xfffe
	v_dual_mul_f32 v22, v3, v11 :: v_dual_add_nc_u32 v1, s0, v1
	s_wait_loadcnt 0x3
	v_mul_f32_e32 v23, v5, v13
	v_mul_f32_e32 v13, v4, v13
	s_wait_loadcnt_dscnt 0x101
	v_mul_f32_e32 v25, v9, v17
	s_wait_loadcnt_dscnt 0x0
	v_mul_f32_e32 v26, v21, v19
	v_dual_mul_f32 v24, v7, v15 :: v_dual_mul_f32 v17, v8, v17
	v_fmac_f32_e32 v23, v4, v12
	s_delay_alu instid0(VALU_DEP_3) | instskip(SKIP_2) | instid1(VALU_DEP_3)
	v_dual_mul_f32 v11, v2, v11 :: v_dual_fmac_f32 v26, v20, v18
	v_mul_f32_e32 v15, v6, v15
	v_dual_mul_f32 v19, v20, v19 :: v_dual_fmac_f32 v22, v2, v10
	v_fma_f32 v10, v10, v3, -v11
	v_fma_f32 v11, v12, v5, -v13
	v_dual_fmac_f32 v24, v6, v14 :: v_dual_fmac_f32 v25, v8, v16
	v_fma_f32 v12, v14, v7, -v15
	v_fma_f32 v16, v16, v9, -v17
	;; [unrolled: 1-line block ×3, first 2 shown]
	v_cvt_f64_f32_e32 v[2:3], v22
	v_cvt_f64_f32_e32 v[4:5], v10
	;; [unrolled: 1-line block ×10, first 2 shown]
	v_mul_f64_e32 v[2:3], s[2:3], v[2:3]
	v_mul_f64_e32 v[4:5], s[2:3], v[4:5]
	v_mul_f64_e32 v[6:7], s[2:3], v[6:7]
	v_mul_f64_e32 v[8:9], s[2:3], v[8:9]
	v_mul_f64_e32 v[10:11], s[2:3], v[10:11]
	v_mul_f64_e32 v[12:13], s[2:3], v[12:13]
	v_mul_f64_e32 v[14:15], s[2:3], v[14:15]
	v_mul_f64_e32 v[16:17], s[2:3], v[16:17]
	v_mul_f64_e32 v[18:19], s[2:3], v[18:19]
	v_mul_f64_e32 v[20:21], s[2:3], v[20:21]
	v_cvt_f32_f64_e32 v2, v[2:3]
	v_cvt_f32_f64_e32 v3, v[4:5]
	;; [unrolled: 1-line block ×10, first 2 shown]
	v_add_co_u32 v12, vcc_lo, v0, s6
	s_wait_alu 0xfffd
	v_add_co_ci_u32_e32 v13, vcc_lo, s7, v1, vcc_lo
	s_delay_alu instid0(VALU_DEP_2) | instskip(SKIP_1) | instid1(VALU_DEP_2)
	v_add_co_u32 v14, vcc_lo, v12, s6
	s_wait_alu 0xfffd
	v_add_co_ci_u32_e32 v15, vcc_lo, s7, v13, vcc_lo
	s_delay_alu instid0(VALU_DEP_2) | instskip(SKIP_1) | instid1(VALU_DEP_2)
	;; [unrolled: 4-line block ×3, first 2 shown]
	v_add_co_u32 v18, vcc_lo, v16, s6
	s_wait_alu 0xfffd
	v_add_co_ci_u32_e32 v19, vcc_lo, s7, v17, vcc_lo
	global_store_b64 v[0:1], v[2:3], off
	global_store_b64 v[12:13], v[4:5], off
	;; [unrolled: 1-line block ×5, first 2 shown]
.LBB0_23:
	s_nop 0
	s_sendmsg sendmsg(MSG_DEALLOC_VGPRS)
	s_endpgm
	.section	.rodata,"a",@progbits
	.p2align	6, 0x0
	.amdhsa_kernel bluestein_single_fwd_len1225_dim1_sp_op_CI_CI
		.amdhsa_group_segment_fixed_size 9800
		.amdhsa_private_segment_fixed_size 0
		.amdhsa_kernarg_size 104
		.amdhsa_user_sgpr_count 2
		.amdhsa_user_sgpr_dispatch_ptr 0
		.amdhsa_user_sgpr_queue_ptr 0
		.amdhsa_user_sgpr_kernarg_segment_ptr 1
		.amdhsa_user_sgpr_dispatch_id 0
		.amdhsa_user_sgpr_private_segment_size 0
		.amdhsa_wavefront_size32 1
		.amdhsa_uses_dynamic_stack 0
		.amdhsa_enable_private_segment 0
		.amdhsa_system_sgpr_workgroup_id_x 1
		.amdhsa_system_sgpr_workgroup_id_y 0
		.amdhsa_system_sgpr_workgroup_id_z 0
		.amdhsa_system_sgpr_workgroup_info 0
		.amdhsa_system_vgpr_workitem_id 0
		.amdhsa_next_free_vgpr 100
		.amdhsa_next_free_sgpr 16
		.amdhsa_reserve_vcc 1
		.amdhsa_float_round_mode_32 0
		.amdhsa_float_round_mode_16_64 0
		.amdhsa_float_denorm_mode_32 3
		.amdhsa_float_denorm_mode_16_64 3
		.amdhsa_fp16_overflow 0
		.amdhsa_workgroup_processor_mode 1
		.amdhsa_memory_ordered 1
		.amdhsa_forward_progress 0
		.amdhsa_round_robin_scheduling 0
		.amdhsa_exception_fp_ieee_invalid_op 0
		.amdhsa_exception_fp_denorm_src 0
		.amdhsa_exception_fp_ieee_div_zero 0
		.amdhsa_exception_fp_ieee_overflow 0
		.amdhsa_exception_fp_ieee_underflow 0
		.amdhsa_exception_fp_ieee_inexact 0
		.amdhsa_exception_int_div_zero 0
	.end_amdhsa_kernel
	.text
.Lfunc_end0:
	.size	bluestein_single_fwd_len1225_dim1_sp_op_CI_CI, .Lfunc_end0-bluestein_single_fwd_len1225_dim1_sp_op_CI_CI
                                        ; -- End function
	.section	.AMDGPU.csdata,"",@progbits
; Kernel info:
; codeLenInByte = 10408
; NumSgprs: 18
; NumVgprs: 100
; ScratchSize: 0
; MemoryBound: 0
; FloatMode: 240
; IeeeMode: 1
; LDSByteSize: 9800 bytes/workgroup (compile time only)
; SGPRBlocks: 2
; VGPRBlocks: 12
; NumSGPRsForWavesPerEU: 18
; NumVGPRsForWavesPerEU: 100
; Occupancy: 12
; WaveLimiterHint : 1
; COMPUTE_PGM_RSRC2:SCRATCH_EN: 0
; COMPUTE_PGM_RSRC2:USER_SGPR: 2
; COMPUTE_PGM_RSRC2:TRAP_HANDLER: 0
; COMPUTE_PGM_RSRC2:TGID_X_EN: 1
; COMPUTE_PGM_RSRC2:TGID_Y_EN: 0
; COMPUTE_PGM_RSRC2:TGID_Z_EN: 0
; COMPUTE_PGM_RSRC2:TIDIG_COMP_CNT: 0
	.text
	.p2alignl 7, 3214868480
	.fill 96, 4, 3214868480
	.type	__hip_cuid_74cdf64c1553417e,@object ; @__hip_cuid_74cdf64c1553417e
	.section	.bss,"aw",@nobits
	.globl	__hip_cuid_74cdf64c1553417e
__hip_cuid_74cdf64c1553417e:
	.byte	0                               ; 0x0
	.size	__hip_cuid_74cdf64c1553417e, 1

	.ident	"AMD clang version 19.0.0git (https://github.com/RadeonOpenCompute/llvm-project roc-6.4.0 25133 c7fe45cf4b819c5991fe208aaa96edf142730f1d)"
	.section	".note.GNU-stack","",@progbits
	.addrsig
	.addrsig_sym __hip_cuid_74cdf64c1553417e
	.amdgpu_metadata
---
amdhsa.kernels:
  - .args:
      - .actual_access:  read_only
        .address_space:  global
        .offset:         0
        .size:           8
        .value_kind:     global_buffer
      - .actual_access:  read_only
        .address_space:  global
        .offset:         8
        .size:           8
        .value_kind:     global_buffer
      - .actual_access:  read_only
        .address_space:  global
        .offset:         16
        .size:           8
        .value_kind:     global_buffer
      - .actual_access:  read_only
        .address_space:  global
        .offset:         24
        .size:           8
        .value_kind:     global_buffer
      - .actual_access:  read_only
        .address_space:  global
        .offset:         32
        .size:           8
        .value_kind:     global_buffer
      - .offset:         40
        .size:           8
        .value_kind:     by_value
      - .address_space:  global
        .offset:         48
        .size:           8
        .value_kind:     global_buffer
      - .address_space:  global
        .offset:         56
        .size:           8
        .value_kind:     global_buffer
      - .address_space:  global
        .offset:         64
        .size:           8
        .value_kind:     global_buffer
      - .address_space:  global
        .offset:         72
        .size:           8
        .value_kind:     global_buffer
      - .offset:         80
        .size:           4
        .value_kind:     by_value
      - .address_space:  global
        .offset:         88
        .size:           8
        .value_kind:     global_buffer
      - .address_space:  global
        .offset:         96
        .size:           8
        .value_kind:     global_buffer
    .group_segment_fixed_size: 9800
    .kernarg_segment_align: 8
    .kernarg_segment_size: 104
    .language:       OpenCL C
    .language_version:
      - 2
      - 0
    .max_flat_workgroup_size: 175
    .name:           bluestein_single_fwd_len1225_dim1_sp_op_CI_CI
    .private_segment_fixed_size: 0
    .sgpr_count:     18
    .sgpr_spill_count: 0
    .symbol:         bluestein_single_fwd_len1225_dim1_sp_op_CI_CI.kd
    .uniform_work_group_size: 1
    .uses_dynamic_stack: false
    .vgpr_count:     100
    .vgpr_spill_count: 0
    .wavefront_size: 32
    .workgroup_processor_mode: 1
amdhsa.target:   amdgcn-amd-amdhsa--gfx1201
amdhsa.version:
  - 1
  - 2
...

	.end_amdgpu_metadata
